;; amdgpu-corpus repo=ROCm/rocFFT kind=compiled arch=gfx950 opt=O3
	.text
	.amdgcn_target "amdgcn-amd-amdhsa--gfx950"
	.amdhsa_code_object_version 6
	.protected	bluestein_single_back_len350_dim1_sp_op_CI_CI ; -- Begin function bluestein_single_back_len350_dim1_sp_op_CI_CI
	.globl	bluestein_single_back_len350_dim1_sp_op_CI_CI
	.p2align	8
	.type	bluestein_single_back_len350_dim1_sp_op_CI_CI,@function
bluestein_single_back_len350_dim1_sp_op_CI_CI: ; @bluestein_single_back_len350_dim1_sp_op_CI_CI
; %bb.0:
	s_load_dwordx4 s[8:11], s[0:1], 0x28
	v_mul_u32_u24_e32 v1, 0x51f, v0
	v_mov_b32_e32 v53, 0
	v_add_u32_sdwa v56, s2, v1 dst_sel:DWORD dst_unused:UNUSED_PAD src0_sel:DWORD src1_sel:WORD_1
	v_mov_b32_e32 v57, v53
	s_waitcnt lgkmcnt(0)
	v_cmp_gt_u64_e32 vcc, s[8:9], v[56:57]
	s_and_saveexec_b64 s[2:3], vcc
	s_cbranch_execz .LBB0_23
; %bb.1:
	s_load_dwordx4 s[4:7], s[0:1], 0x18
	s_load_dwordx2 s[12:13], s[0:1], 0x0
	v_mov_b32_e32 v2, s10
	v_mov_b32_e32 v3, s11
	;; [unrolled: 1-line block ×3, first 2 shown]
	s_waitcnt lgkmcnt(0)
	s_load_dwordx4 s[8:11], s[4:5], 0x0
	v_mul_lo_u16_sdwa v1, v1, v4 dst_sel:DWORD dst_unused:UNUSED_PAD src0_sel:WORD_1 src1_sel:DWORD
	v_sub_u16_e32 v52, v0, v1
	v_lshlrev_b32_e32 v48, 3, v52
	global_load_dwordx2 v[64:65], v48, s[12:13]
	s_waitcnt lgkmcnt(0)
	v_mad_u64_u32 v[0:1], s[2:3], s10, v56, 0
	v_mov_b32_e32 v4, v1
	v_mad_u64_u32 v[4:5], s[2:3], s11, v56, v[4:5]
	v_mov_b32_e32 v1, v4
	v_mad_u64_u32 v[4:5], s[2:3], s8, v52, 0
	v_mov_b32_e32 v6, v5
	v_mad_u64_u32 v[6:7], s[2:3], s9, v52, v[6:7]
	s_mul_i32 s2, s9, 0x46
	s_mul_hi_u32 s3, s8, 0x46
	v_mov_b32_e32 v5, v6
	v_lshl_add_u64 v[0:1], v[0:1], 3, v[2:3]
	s_add_i32 s3, s3, s2
	s_mul_i32 s2, s8, 0x46
	v_lshl_add_u64 v[0:1], v[4:5], 3, v[0:1]
	s_lshl_b64 s[2:3], s[2:3], 3
	global_load_dwordx2 v[2:3], v[0:1], off
	v_lshl_add_u64 v[0:1], v[0:1], 0, s[2:3]
	global_load_dwordx2 v[4:5], v[0:1], off
	global_load_dwordx2 v[62:63], v48, s[12:13] offset:560
	v_lshl_add_u64 v[0:1], v[0:1], 0, s[2:3]
	global_load_dwordx2 v[60:61], v48, s[12:13] offset:1120
	global_load_dwordx2 v[6:7], v[0:1], off
	v_lshl_add_u64 v[0:1], v[0:1], 0, s[2:3]
	global_load_dwordx2 v[8:9], v[0:1], off
	global_load_dwordx2 v[58:59], v48, s[12:13] offset:1680
	v_lshl_add_u64 v[0:1], v[0:1], 0, s[2:3]
	global_load_dwordx2 v[54:55], v48, s[12:13] offset:2240
	global_load_dwordx2 v[10:11], v[0:1], off
	s_load_dwordx2 s[10:11], s[0:1], 0x38
	v_mov_b32_e32 v49, v53
	s_load_dwordx4 s[4:7], s[6:7], 0x0
	v_lshl_add_u64 v[50:51], s[12:13], 0, v[48:49]
	v_cmp_gt_u16_e32 vcc, 20, v52
	s_waitcnt vmcnt(8)
	v_mul_f32_e32 v12, v3, v65
	v_mul_f32_e32 v13, v2, v65
	v_fmac_f32_e32 v12, v2, v64
	v_fma_f32 v13, v3, v64, -v13
	s_waitcnt vmcnt(6)
	v_mul_f32_e32 v2, v5, v63
	v_mul_f32_e32 v3, v4, v63
	v_fmac_f32_e32 v2, v4, v62
	v_fma_f32 v3, v5, v62, -v3
	s_waitcnt vmcnt(4)
	v_mul_f32_e32 v4, v7, v61
	v_mul_f32_e32 v5, v6, v61
	ds_write2_b64 v48, v[12:13], v[2:3] offset1:70
	v_fmac_f32_e32 v4, v6, v60
	v_fma_f32 v5, v7, v60, -v5
	s_waitcnt vmcnt(2)
	v_mul_f32_e32 v2, v9, v59
	v_mul_f32_e32 v3, v8, v59
	s_waitcnt vmcnt(0)
	v_mul_f32_e32 v6, v11, v55
	v_mul_f32_e32 v7, v10, v55
	v_fmac_f32_e32 v2, v8, v58
	v_fma_f32 v3, v9, v58, -v3
	v_fmac_f32_e32 v6, v10, v54
	v_fma_f32 v7, v11, v54, -v7
	ds_write2_b64 v48, v[4:5], v[2:3] offset0:140 offset1:210
	ds_write_b64 v48, v[6:7] offset:2240
	s_and_saveexec_b64 s[14:15], vcc
	s_cbranch_execz .LBB0_3
; %bb.2:
	v_mov_b32_e32 v2, 0xfffff8d0
	s_mulk_i32 s9, 0xf8d0
	v_mad_u64_u32 v[0:1], s[16:17], s8, v2, v[0:1]
	s_sub_i32 s8, s9, s8
	v_add_u32_e32 v1, s8, v1
	global_load_dwordx2 v[2:3], v[0:1], off
	global_load_dwordx2 v[4:5], v[50:51], off offset:400
	v_lshl_add_u64 v[0:1], v[0:1], 0, s[2:3]
	global_load_dwordx2 v[6:7], v[0:1], off
	global_load_dwordx2 v[8:9], v[50:51], off offset:960
	v_lshl_add_u64 v[0:1], v[0:1], 0, s[2:3]
	global_load_dwordx2 v[10:11], v[0:1], off
	global_load_dwordx2 v[12:13], v[50:51], off offset:1520
	global_load_dwordx2 v[14:15], v[50:51], off offset:2080
	v_lshl_add_u64 v[0:1], v[0:1], 0, s[2:3]
	global_load_dwordx2 v[16:17], v[0:1], off
	global_load_dwordx2 v[18:19], v[50:51], off offset:2640
	v_lshl_add_u64 v[0:1], v[0:1], 0, s[2:3]
	global_load_dwordx2 v[0:1], v[0:1], off
	v_add_u32_e32 v22, 0x400, v48
	s_waitcnt vmcnt(8)
	v_mul_f32_e32 v20, v3, v5
	v_mul_f32_e32 v5, v2, v5
	v_fmac_f32_e32 v20, v2, v4
	v_fma_f32 v21, v3, v4, -v5
	s_waitcnt vmcnt(6)
	v_mul_f32_e32 v2, v7, v9
	v_mul_f32_e32 v3, v6, v9
	v_fmac_f32_e32 v2, v6, v8
	v_fma_f32 v3, v7, v8, -v3
	s_waitcnt vmcnt(4)
	v_mul_f32_e32 v4, v11, v13
	v_mul_f32_e32 v5, v10, v13
	ds_write2_b64 v48, v[20:21], v[2:3] offset0:50 offset1:120
	s_waitcnt vmcnt(2)
	v_mul_f32_e32 v2, v17, v15
	v_mul_f32_e32 v3, v16, v15
	s_waitcnt vmcnt(0)
	v_mul_f32_e32 v6, v1, v19
	v_mul_f32_e32 v7, v0, v19
	v_fmac_f32_e32 v4, v10, v12
	v_fma_f32 v5, v11, v12, -v5
	v_fmac_f32_e32 v2, v16, v14
	v_fma_f32 v3, v17, v14, -v3
	;; [unrolled: 2-line block ×3, first 2 shown]
	ds_write2_b64 v22, v[4:5], v[2:3] offset0:62 offset1:132
	ds_write_b64 v48, v[6:7] offset:2640
.LBB0_3:
	s_or_b64 exec, exec, s[14:15]
	s_waitcnt lgkmcnt(0)
	; wave barrier
	s_waitcnt lgkmcnt(0)
	ds_read2_b64 v[8:11], v48 offset1:70
	ds_read2_b64 v[12:15], v48 offset0:140 offset1:210
	ds_read_b64 v[18:19], v48 offset:2240
	s_load_dwordx2 s[8:9], s[0:1], 0x8
                                        ; implicit-def: $vgpr4
                                        ; implicit-def: $vgpr2
                                        ; implicit-def: $vgpr16
	s_and_saveexec_b64 s[0:1], vcc
	s_cbranch_execz .LBB0_5
; %bb.4:
	v_add_u32_e32 v4, 0x400, v48
	ds_read2_b64 v[0:3], v48 offset0:50 offset1:120
	ds_read2_b64 v[4:7], v4 offset0:62 offset1:132
	ds_read_b64 v[16:17], v48 offset:2640
.LBB0_5:
	s_or_b64 exec, exec, s[0:1]
	s_waitcnt lgkmcnt(0)
	v_pk_add_f32 v[34:35], v[2:3], v[16:17] neg_lo:[0,1] neg_hi:[0,1]
	v_pk_add_f32 v[20:21], v[4:5], v[6:7]
	s_mov_b32 s2, 0x3f737871
	v_pk_add_f32 v[36:37], v[4:5], v[6:7] neg_lo:[0,1] neg_hi:[0,1]
	v_pk_fma_f32 v[22:23], v[20:21], 0.5, v[0:1] op_sel_hi:[1,0,1] neg_lo:[1,0,0] neg_hi:[1,0,0]
	v_pk_mul_f32 v[28:29], v[34:35], s[2:3] op_sel_hi:[1,0]
	s_mov_b32 s14, 0x3f167918
	v_pk_add_f32 v[20:21], v[2:3], v[4:5] neg_lo:[0,1] neg_hi:[0,1]
	v_pk_add_f32 v[26:27], v[16:17], v[6:7] neg_lo:[0,1] neg_hi:[0,1]
	v_pk_add_f32 v[38:39], v[2:3], v[16:17]
	v_pk_mul_f32 v[24:25], v[36:37], s[14:15] op_sel_hi:[1,0]
	v_pk_add_f32 v[26:27], v[20:21], v[26:27]
	v_pk_add_f32 v[20:21], v[22:23], v[28:29] op_sel:[0,1] op_sel_hi:[1,0] neg_lo:[0,1] neg_hi:[0,1]
	v_pk_add_f32 v[22:23], v[22:23], v[28:29] op_sel:[0,1] op_sel_hi:[1,0]
	v_pk_add_f32 v[28:29], v[20:21], v[24:25] op_sel:[0,1] op_sel_hi:[1,0] neg_lo:[0,1] neg_hi:[0,1]
	v_pk_add_f32 v[44:45], v[22:23], v[24:25] op_sel:[0,1] op_sel_hi:[1,0]
	v_pk_fma_f32 v[38:39], v[38:39], 0.5, v[0:1] op_sel_hi:[1,0,1] neg_lo:[1,0,0] neg_hi:[1,0,0]
	v_pk_mul_f32 v[36:37], v[36:37], s[2:3] op_sel_hi:[1,0]
	v_mov_b32_e32 v29, v45
	v_pk_add_f32 v[44:45], v[38:39], v[36:37] op_sel:[0,1] op_sel_hi:[1,0] neg_lo:[0,1] neg_hi:[0,1]
	v_pk_add_f32 v[36:37], v[38:39], v[36:37] op_sel:[0,1] op_sel_hi:[1,0]
	v_pk_mul_f32 v[34:35], v[34:35], s[14:15] op_sel_hi:[1,0]
	v_pk_add_f32 v[40:41], v[4:5], v[2:3] neg_lo:[0,1] neg_hi:[0,1]
	v_pk_add_f32 v[42:43], v[6:7], v[16:17] neg_lo:[0,1] neg_hi:[0,1]
	v_pk_add_f32 v[36:37], v[36:37], v[34:35] op_sel:[0,1] op_sel_hi:[1,0] neg_lo:[0,1] neg_hi:[0,1]
	v_pk_add_f32 v[38:39], v[44:45], v[34:35] op_sel:[0,1] op_sel_hi:[1,0]
	s_mov_b32 s0, 0x3e9e377a
	v_mov_b32_e32 v34, v38
	v_mov_b32_e32 v35, v37
	v_pk_add_f32 v[40:41], v[40:41], v[42:43]
	v_mov_b32_e32 v37, v39
	v_pk_fma_f32 v[34:35], v[40:41], s[0:1], v[34:35] op_sel_hi:[1,0,1]
	v_pk_fma_f32 v[40:41], v[40:41], s[0:1], v[36:37] op_sel_hi:[1,0,1]
	v_pk_add_f32 v[36:37], v[12:13], v[14:15]
	v_pk_add_f32 v[38:39], v[10:11], v[18:19] neg_lo:[0,1] neg_hi:[0,1]
	v_pk_fma_f32 v[36:37], v[36:37], 0.5, v[8:9] op_sel_hi:[1,0,1] neg_lo:[1,0,0] neg_hi:[1,0,0]
	v_pk_mul_f32 v[42:43], v[38:39], s[2:3] op_sel_hi:[1,0]
	v_pk_add_f32 v[44:45], v[12:13], v[14:15] neg_lo:[0,1] neg_hi:[0,1]
	v_pk_add_f32 v[66:67], v[10:11], v[12:13] neg_lo:[0,1] neg_hi:[0,1]
	;; [unrolled: 1-line block ×3, first 2 shown]
	v_pk_add_f32 v[32:33], v[8:9], v[10:11]
	v_pk_mul_f32 v[46:47], v[44:45], s[14:15] op_sel_hi:[1,0]
	v_pk_add_f32 v[66:67], v[66:67], v[68:69]
	v_pk_add_f32 v[68:69], v[36:37], v[42:43] op_sel:[0,1] op_sel_hi:[1,0]
	v_pk_add_f32 v[36:37], v[36:37], v[42:43] op_sel:[0,1] op_sel_hi:[1,0] neg_lo:[0,1] neg_hi:[0,1]
	v_lshl_add_u64 v[30:31], v[52:53], 0, 50
	v_pk_add_f32 v[32:33], v[32:33], v[12:13]
	v_pk_add_f32 v[36:37], v[36:37], v[46:47] op_sel:[0,1] op_sel_hi:[1,0] neg_lo:[0,1] neg_hi:[0,1]
	v_pk_add_f32 v[42:43], v[68:69], v[46:47] op_sel:[0,1] op_sel_hi:[1,0]
	v_mul_lo_u16_e32 v31, 5, v52
	v_pk_add_f32 v[32:33], v[32:33], v[14:15]
	v_mov_b32_e32 v46, v42
	v_mov_b32_e32 v47, v37
	v_lshlrev_b32_e32 v49, 3, v31
	v_pk_add_f32 v[32:33], v[32:33], v[18:19]
	v_pk_fma_f32 v[46:47], v[66:67], s[0:1], v[46:47] op_sel_hi:[1,0,1]
	s_waitcnt lgkmcnt(0)
	; wave barrier
	ds_write2_b64 v49, v[32:33], v[46:47] offset1:1
	v_pk_add_f32 v[32:33], v[10:11], v[18:19]
	v_pk_add_f32 v[10:11], v[12:13], v[10:11] neg_lo:[0,1] neg_hi:[0,1]
	v_pk_add_f32 v[12:13], v[14:15], v[18:19] neg_lo:[0,1] neg_hi:[0,1]
	v_pk_fma_f32 v[8:9], v[32:33], 0.5, v[8:9] op_sel_hi:[1,0,1] neg_lo:[1,0,0] neg_hi:[1,0,0]
	v_pk_add_f32 v[10:11], v[10:11], v[12:13]
	v_pk_mul_f32 v[12:13], v[44:45], s[2:3] op_sel_hi:[1,0]
	v_pk_mul_f32 v[14:15], v[38:39], s[14:15] op_sel_hi:[1,0]
	v_pk_add_f32 v[18:19], v[8:9], v[12:13] op_sel:[0,1] op_sel_hi:[1,0] neg_lo:[0,1] neg_hi:[0,1]
	v_pk_add_f32 v[8:9], v[8:9], v[12:13] op_sel:[0,1] op_sel_hi:[1,0]
	v_pk_add_f32 v[12:13], v[18:19], v[14:15] op_sel:[0,1] op_sel_hi:[1,0]
	v_pk_add_f32 v[8:9], v[8:9], v[14:15] op_sel:[0,1] op_sel_hi:[1,0] neg_lo:[0,1] neg_hi:[0,1]
	v_mov_b32_e32 v14, v12
	v_mov_b32_e32 v15, v9
	;; [unrolled: 1-line block ×3, first 2 shown]
	v_pk_fma_f32 v[14:15], v[10:11], s[0:1], v[14:15] op_sel_hi:[1,0,1]
	v_pk_fma_f32 v[8:9], v[10:11], s[0:1], v[8:9] op_sel_hi:[1,0,1]
	v_mov_b32_e32 v37, v43
	v_pk_fma_f32 v[28:29], v[26:27], s[0:1], v[28:29] op_sel_hi:[1,0,1]
	ds_write2_b64 v49, v[14:15], v[8:9] offset0:2 offset1:3
	v_pk_fma_f32 v[8:9], v[66:67], s[0:1], v[36:37] op_sel_hi:[1,0,1]
	v_mul_u32_u24_e32 v53, 5, v30
	ds_write_b64 v49, v[8:9] offset:32
	s_and_saveexec_b64 s[2:3], vcc
	s_cbranch_execz .LBB0_7
; %bb.6:
	v_mov_b32_e32 v8, v25
	v_mov_b32_e32 v9, v24
	v_pk_add_f32 v[0:1], v[0:1], v[2:3]
	v_pk_add_f32 v[2:3], v[22:23], v[8:9]
	;; [unrolled: 1-line block ×3, first 2 shown]
	v_pk_add_f32 v[4:5], v[20:21], v[8:9] neg_lo:[0,1] neg_hi:[0,1]
	v_pk_mul_f32 v[10:11], v[26:27], s[0:1] op_sel_hi:[1,0]
	v_pk_add_f32 v[0:1], v[0:1], v[6:7]
	v_mov_b32_e32 v3, v5
	v_lshlrev_b32_e32 v12, 3, v53
	v_pk_add_f32 v[0:1], v[0:1], v[16:17]
	v_pk_add_f32 v[2:3], v[10:11], v[2:3]
	ds_write2_b64 v12, v[0:1], v[2:3] offset1:1
	ds_write2_b64 v12, v[34:35], v[40:41] offset0:2 offset1:3
	ds_write_b64 v12, v[28:29] offset:32
.LBB0_7:
	s_or_b64 exec, exec, s[2:3]
	s_movk_i32 s0, 0xcd
	v_mul_lo_u16_sdwa v0, v52, s0 dst_sel:DWORD dst_unused:UNUSED_PAD src0_sel:BYTE_0 src1_sel:DWORD
	v_lshrrev_b16_e32 v57, 10, v0
	v_mul_lo_u16_e32 v0, 5, v57
	v_sub_u16_e32 v0, v52, v0
	v_and_b32_e32 v82, 0xff, v0
	v_mul_u32_u24_e32 v0, 6, v82
	v_lshlrev_b32_e32 v12, 3, v0
	s_waitcnt lgkmcnt(0)
	; wave barrier
	s_waitcnt lgkmcnt(0)
	global_load_dwordx4 v[0:3], v12, s[8:9] offset:16
	global_load_dwordx4 v[4:7], v12, s[8:9] offset:32
	global_load_dwordx4 v[8:11], v12, s[8:9]
	ds_read2_b64 v[12:15], v48 offset1:50
	ds_read2_b64 v[16:19], v48 offset0:100 offset1:150
	ds_read2_b64 v[20:23], v48 offset0:200 offset1:250
	ds_read_b64 v[24:25], v48 offset:2400
	s_mov_b32 s0, 0x3d64c772
	s_waitcnt lgkmcnt(3)
	v_mov_b32_e32 v31, v14
	s_waitcnt lgkmcnt(2)
	v_mov_b32_e32 v26, v19
	v_mov_b32_e32 v19, v16
	v_mov_b32_e32 v27, v17
	s_waitcnt lgkmcnt(1)
	v_mov_b32_e32 v32, v21
	v_mov_b32_e32 v33, v15
	;; [unrolled: 1-line block ×7, first 2 shown]
	s_waitcnt lgkmcnt(0)
	v_mov_b32_e32 v15, v24
	v_mov_b32_e32 v21, v23
	;; [unrolled: 1-line block ×4, first 2 shown]
	s_mov_b32 s1, 0x3f4a47b2
	s_mov_b32 s18, 0xbf08b237
	;; [unrolled: 1-line block ×9, first 2 shown]
	s_waitcnt lgkmcnt(0)
	; wave barrier
	s_waitcnt vmcnt(2)
	v_mov_b32_e32 v42, v1
	v_mov_b32_e32 v38, v0
	s_waitcnt vmcnt(0)
	v_mov_b32_e32 v43, v11
	v_mov_b32_e32 v39, v10
	;; [unrolled: 1-line block ×8, first 2 shown]
	v_pk_mul_f32 v[42:43], v[18:19], v[42:43]
	v_mov_b32_e32 v66, v3
	v_mov_b32_e32 v45, v8
	;; [unrolled: 1-line block ×9, first 2 shown]
	v_pk_mul_f32 v[68:69], v[32:33], v[68:69]
	v_mov_b32_e32 v33, v22
	v_pk_mul_f32 v[16:17], v[16:17], v[76:77]
	v_pk_mul_f32 v[14:15], v[14:15], v[78:79]
	v_pk_fma_f32 v[38:39], v[26:27], v[38:39], v[42:43]
	v_mov_b32_e32 v27, v25
	v_mov_b32_e32 v67, v4
	;; [unrolled: 1-line block ×7, first 2 shown]
	v_pk_mul_f32 v[32:33], v[32:33], v[2:3]
	v_pk_fma_f32 v[24:25], v[36:37], v[44:45], v[16:17]
	v_pk_fma_f32 v[16:17], v[36:37], v[74:75], v[16:17] neg_lo:[0,0,1] neg_hi:[0,0,1]
	v_pk_fma_f32 v[36:37], v[22:23], v[80:81], v[14:15]
	v_pk_fma_f32 v[14:15], v[22:23], v[80:81], v[14:15] neg_lo:[0,0,1] neg_hi:[0,0,1]
	v_pk_mul_f32 v[22:23], v[26:27], v[72:73]
	v_pk_fma_f32 v[30:31], v[30:31], v[46:47], v[68:69] neg_lo:[0,0,1] neg_hi:[0,0,1]
	v_pk_fma_f32 v[20:21], v[20:21], v[66:67], v[32:33]
	v_mov_b32_e32 v17, v25
	v_mov_b32_e32 v15, v37
	v_pk_fma_f32 v[18:19], v[18:19], v[70:71], v[22:23] neg_lo:[0,0,1] neg_hi:[0,0,1]
	v_mov_b32_e32 v26, v39
	v_mov_b32_e32 v27, v16
	;; [unrolled: 1-line block ×3, first 2 shown]
	v_pk_add_f32 v[14:15], v[16:17], v[14:15]
	v_mov_b32_e32 v32, v21
	v_pk_add_f32 v[16:17], v[30:31], v[18:19] neg_lo:[0,1] neg_hi:[0,1]
	v_pk_add_f32 v[18:19], v[30:31], v[18:19]
	v_pk_add_f32 v[22:23], v[38:39], v[20:21]
	v_pk_add_f32 v[26:27], v[26:27], v[32:33] neg_lo:[0,1] neg_hi:[0,1]
	v_mov_b32_e32 v30, v14
	v_mov_b32_e32 v31, v18
	;; [unrolled: 1-line block ×4, first 2 shown]
	v_pk_add_f32 v[44:45], v[18:19], v[30:31] neg_lo:[0,1] neg_hi:[0,1]
	v_mov_b32_e32 v30, v19
	v_mov_b32_e32 v31, v23
	v_mov_b32_e32 v32, v23
	v_mov_b32_e32 v33, v15
	v_sub_f32_e32 v3, v27, v17
	v_pk_add_f32 v[42:43], v[16:17], v[42:43] neg_lo:[0,1] neg_hi:[0,1]
	v_pk_mul_f32 v[46:47], v[44:45], s[0:1]
	v_pk_add_f32 v[30:31], v[30:31], v[14:15]
	v_mov_b32_e32 v68, v19
	v_mov_b32_e32 v69, v22
	;; [unrolled: 1-line block ×7, first 2 shown]
	v_pk_add_f32 v[32:33], v[22:23], v[32:33] neg_lo:[0,1] neg_hi:[0,1]
	v_pk_add_f32 v[14:15], v[14:15], v[68:69] neg_lo:[0,1] neg_hi:[0,1]
	v_pk_add_f32 v[18:19], v[18:19], v[30:31]
	v_pk_mul_f32 v[68:69], v[42:43], s[18:19]
	v_mul_f32_e32 v4, 0x3f5ff5aa, v3
	v_mov_b32_e32 v3, v46
	v_pk_add_f32 v[20:21], v[24:25], v[20:21] neg_lo:[0,1] neg_hi:[0,1]
	v_pk_add_f32 v[30:31], v[12:13], v[18:19]
	v_pk_mul_f32 v[12:13], v[14:15], s[14:15]
	v_pk_mul_f32 v[22:23], v[32:33], s[16:17]
	v_pk_fma_f32 v[44:45], v[44:45], s[0:1], v[2:3]
	v_mov_b32_e32 v3, v68
	v_mov_b32_e32 v24, v21
	;; [unrolled: 1-line block ×5, first 2 shown]
	v_pk_fma_f32 v[18:19], v[18:19], s[2:3], v[30:31] op_sel_hi:[1,0,1]
	v_pk_fma_f32 v[70:71], v[14:15], s[14:15], v[22:23] op_sel:[0,0,1] op_sel_hi:[1,1,0]
	v_sub_f32_e64 v44, -v47, v12
	v_xor_b32_e32 v13, 0x80000000, v13
	v_mov_b32_e32 v12, v23
	v_pk_fma_f32 v[22:23], v[42:43], s[18:19], v[2:3]
	v_pk_add_f32 v[24:25], v[24:25], v[26:27]
	v_pk_add_f32 v[36:37], v[20:21], v[36:37] neg_lo:[0,1] neg_hi:[0,1]
	v_sub_f32_e32 v3, v26, v20
	v_mov_b32_e32 v21, v17
	s_mov_b32 s2, s19
	s_mov_b32 s3, s18
	v_pk_fma_f32 v[12:13], v[32:33], s[16:17], v[12:13] neg_lo:[1,0,0] neg_hi:[1,0,0]
	v_pk_fma_f32 v[32:33], v[42:43], s[18:19], v[4:5] op_sel_hi:[1,1,0] neg_lo:[1,0,0] neg_hi:[1,0,1]
	v_pk_add_f32 v[16:17], v[24:25], v[20:21]
	v_pk_mul_f32 v[24:25], v[36:37], s[2:3]
	v_mul_f32_e32 v4, 0x3f5ff5aa, v3
	v_pk_fma_f32 v[14:15], v[14:15], s[14:15], v[46:47] neg_lo:[0,0,1] neg_hi:[0,0,1]
	s_mov_b32 s0, 0x3ee1c552
	v_xor_b32_e32 v26, 0x80000000, v4
	v_mov_b32_e32 v27, v24
	v_mov_b32_e32 v15, v71
	v_pk_mul_f32 v[20:21], v[16:17], s[0:1] op_sel_hi:[1,0]
	v_fma_f32 v22, v3, s20, -v25
	v_pk_fma_f32 v[24:25], v[36:37], s[2:3], v[26:27] neg_lo:[1,0,0] neg_hi:[1,0,0]
	v_pk_fma_f32 v[26:27], v[36:37], s[2:3], v[26:27]
	v_pk_add_f32 v[14:15], v[14:15], v[18:19]
	v_pk_add_f32 v[12:13], v[12:13], v[18:19] op_sel:[0,1]
	v_mov_b32_e32 v25, v27
	v_pk_fma_f32 v[16:17], v[16:17], s[0:1], v[22:23] op_sel_hi:[1,0,1]
	v_pk_add_f32 v[22:23], v[20:21], v[32:33] op_sel:[1,0]
	v_pk_add_f32 v[18:19], v[44:45], v[18:19] op_sel_hi:[1,0]
	v_pk_add_f32 v[20:21], v[20:21], v[24:25] op_sel_hi:[0,1]
	v_mov_b32_e32 v24, v13
	v_mov_b32_e32 v25, v15
	;; [unrolled: 1-line block ×4, first 2 shown]
	v_pk_add_f32 v[42:43], v[20:21], v[18:19]
	v_pk_add_f32 v[32:33], v[24:25], v[26:27] neg_lo:[0,1] neg_hi:[0,1]
	v_mov_b32_e32 v24, v14
	v_mov_b32_e32 v25, v18
	;; [unrolled: 1-line block ×4, first 2 shown]
	v_pk_add_f32 v[44:45], v[22:23], v[12:13]
	v_mov_b32_e32 v18, v19
	v_mov_b32_e32 v19, v12
	;; [unrolled: 1-line block ×4, first 2 shown]
	v_mul_u32_u24_e32 v3, 35, v57
	v_pk_add_f32 v[36:37], v[24:25], v[26:27] neg_lo:[0,1] neg_hi:[0,1]
	v_pk_add_f32 v[38:39], v[18:19], v[12:13] neg_lo:[0,1] neg_hi:[0,1]
	v_add_lshl_u32 v4, v3, v82, 3
	v_mov_b32_e32 v12, v43
	v_mov_b32_e32 v13, v33
	v_pk_add_f32 v[46:47], v[16:17], v[14:15]
	ds_write2_b64 v4, v[30:31], v[12:13] offset1:5
	v_mov_b32_e32 v12, v42
	v_mov_b32_e32 v13, v32
	;; [unrolled: 1-line block ×4, first 2 shown]
	ds_write2_b64 v4, v[12:13], v[14:15] offset0:10 offset1:15
	v_mov_b32_e32 v12, v46
	v_mov_b32_e32 v13, v39
	;; [unrolled: 1-line block ×4, first 2 shown]
	ds_write2_b64 v4, v[12:13], v[14:15] offset0:20 offset1:25
	v_mov_b32_e32 v12, v38
	v_mov_b32_e32 v13, v47
	v_cmp_gt_u16_e64 s[0:1], 35, v52
	v_cmp_lt_u16_e64 s[2:3], 34, v52
	ds_write_b64 v4, v[12:13] offset:240
	s_waitcnt lgkmcnt(0)
	; wave barrier
	s_waitcnt lgkmcnt(0)
	s_and_saveexec_b64 s[14:15], s[2:3]
	s_xor_b64 s[14:15], exec, s[14:15]
	s_andn2_saveexec_b64 s[14:15], s[14:15]
	s_cbranch_execz .LBB0_9
; %bb.8:
	v_add_u32_e32 v3, 0x800, v48
	ds_read2_b64 v[30:33], v48 offset1:35
	ds_read2_b64 v[34:37], v48 offset0:70 offset1:105
	ds_read2_b64 v[12:15], v48 offset0:140 offset1:175
	;; [unrolled: 1-line block ×4, first 2 shown]
	s_waitcnt lgkmcnt(4)
	v_mov_b32_e32 v43, v32
	s_waitcnt lgkmcnt(3)
	v_mov_b32_e32 v44, v37
	;; [unrolled: 2-line block ×3, first 2 shown]
	v_mov_b32_e32 v46, v12
	s_waitcnt lgkmcnt(1)
	v_mov_b32_e32 v47, v39
	v_mov_b32_e32 v42, v34
	;; [unrolled: 1-line block ×5, first 2 shown]
	v_mov_b64_e32 v[34:35], v[40:41]
	s_waitcnt lgkmcnt(0)
	v_mov_b64_e32 v[40:41], v[26:27]
.LBB0_9:
	s_or_b64 exec, exec, s[14:15]
	v_subrev_u32_e32 v3, 35, v52
	v_cndmask_b32_e64 v3, v3, v52, s[0:1]
	v_mul_hi_i32_i24_e32 v13, 0x48, v3
	v_mul_i32_i24_e32 v12, 0x48, v3
	v_lshl_add_u64 v[70:71], s[8:9], 0, v[12:13]
	global_load_dwordx4 v[12:15], v[70:71], off offset:240
	global_load_dwordx4 v[24:27], v[70:71], off offset:256
	;; [unrolled: 1-line block ×4, first 2 shown]
	global_load_dwordx2 v[68:69], v[70:71], off offset:304
	v_mov_b32_e32 v72, v33
	v_mov_b32_e32 v70, v43
	s_mov_b32 s8, 0x3f737871
	s_mov_b32 s9, 0xbf737871
	;; [unrolled: 1-line block ×6, first 2 shown]
	s_waitcnt vmcnt(4)
	v_pk_mul_f32 v[74:75], v[32:33], v[12:13]
	s_nop 0
	v_mov_b32_e32 v74, v15
	s_waitcnt vmcnt(3)
	v_pk_mul_f32 v[78:79], v[38:39], v[26:27] op_sel:[1,0]
	s_waitcnt vmcnt(2)
	v_pk_mul_f32 v[82:83], v[46:47], v[22:23] op_sel:[1,0]
	;; [unrolled: 2-line block ×3, first 2 shown]
	v_pk_mul_f32 v[86:87], v[40:41], v[18:19] op_sel:[1,0]
	s_waitcnt vmcnt(0)
	v_pk_mul_f32 v[88:89], v[28:29], v[68:69] op_sel:[1,0]
	v_mov_b32_e32 v90, v75
	v_pk_mul_f32 v[92:93], v[32:33], v[74:75]
	v_pk_mul_f32 v[74:75], v[42:43], v[74:75]
	v_pk_fma_f32 v[98:99], v[46:47], v[26:27], v[78:79] op_sel:[0,0,1] op_sel_hi:[1,1,0] neg_lo:[0,0,1] neg_hi:[0,0,1]
	v_pk_fma_f32 v[46:47], v[46:47], v[26:27], v[78:79] op_sel:[0,0,1] op_sel_hi:[0,1,0]
	v_pk_fma_f32 v[100:101], v[38:39], v[22:23], v[82:83] op_sel:[0,0,1] op_sel_hi:[1,1,0] neg_lo:[0,0,1] neg_hi:[0,0,1]
	v_pk_fma_f32 v[38:39], v[38:39], v[22:23], v[82:83] op_sel:[0,0,1] op_sel_hi:[0,1,0]
	v_pk_mul_f32 v[76:77], v[42:43], v[12:13]
	v_pk_fma_f32 v[82:83], v[34:35], v[16:17], v[84:85] op_sel:[0,0,1] op_sel_hi:[1,1,0] neg_lo:[0,0,1] neg_hi:[0,0,1]
	v_pk_fma_f32 v[34:35], v[34:35], v[16:17], v[84:85] op_sel:[0,0,1] op_sel_hi:[0,1,0]
	v_pk_fma_f32 v[84:85], v[40:41], v[18:19], v[86:87] op_sel:[0,0,1] op_sel_hi:[0,1,0] neg_lo:[0,0,1] neg_hi:[0,0,1]
	v_pk_fma_f32 v[40:41], v[40:41], v[18:19], v[86:87] op_sel:[0,0,1] op_sel_hi:[0,1,0]
	;; [unrolled: 2-line block ×3, first 2 shown]
	v_pk_fma_f32 v[28:29], v[42:43], v[14:15], v[92:93] neg_lo:[0,0,1] neg_hi:[0,0,1]
	v_pk_fma_f32 v[32:33], v[32:33], v[14:15], v[74:75]
	v_mov_b32_e32 v99, v47
	v_mov_b32_e32 v101, v39
	;; [unrolled: 1-line block ×6, first 2 shown]
	v_pk_add_f32 v[38:39], v[28:29], v[84:85]
	v_mov_b32_e32 v29, v32
	v_pk_add_f32 v[42:43], v[98:99], v[100:101]
	v_mov_b32_e32 v3, v32
	v_pk_mul_f32 v[80:81], v[44:45], v[20:21] op_sel:[1,0]
	v_pk_mul_f32 v[94:95], v[44:45], v[76:77]
	v_pk_mul_f32 v[96:97], v[36:37], v[76:77]
	v_pk_fma_f32 v[70:71], v[70:71], v[12:13], v[90:91] neg_lo:[0,0,1] neg_hi:[0,0,1]
	v_pk_add_f32 v[90:91], v[30:31], v[28:29]
	v_pk_fma_f32 v[42:43], v[42:43], 0.5, v[30:31] op_sel_hi:[1,0,1] neg_lo:[1,0,0] neg_hi:[1,0,0]
	v_pk_add_f32 v[92:93], v[28:29], v[34:35] neg_lo:[0,1] neg_hi:[0,1]
	v_pk_add_f32 v[40:41], v[2:3], v[40:41]
	v_pk_fma_f32 v[78:79], v[36:37], v[20:21], v[80:81] op_sel:[1,0,1] op_sel_hi:[1,1,0] neg_lo:[0,0,1] neg_hi:[0,0,1]
	v_pk_fma_f32 v[80:81], v[36:37], v[20:21], v[80:81] op_sel:[1,0,1] op_sel_hi:[1,1,0]
	v_pk_fma_f32 v[36:37], v[36:37], v[24:25], v[94:95] neg_lo:[0,0,1] neg_hi:[0,0,1]
	v_pk_fma_f32 v[74:75], v[44:45], v[24:25], v[96:97]
	v_pk_add_f32 v[44:45], v[98:99], v[100:101] neg_lo:[0,1] neg_hi:[0,1]
	v_pk_add_f32 v[32:33], v[100:101], v[34:35] neg_lo:[0,1] neg_hi:[0,1]
	;; [unrolled: 1-line block ×4, first 2 shown]
	v_pk_add_f32 v[90:91], v[90:91], v[98:99]
	v_pk_fma_f32 v[96:97], v[92:93], s[8:9], v[42:43] op_sel:[1,0,0] op_sel_hi:[0,0,1]
	v_pk_fma_f32 v[42:43], v[92:93], s[8:9], v[42:43] op_sel:[1,0,0] op_sel_hi:[0,0,1] neg_lo:[1,0,0] neg_hi:[1,0,0]
	v_mov_b32_e32 v39, v41
	v_pk_add_f32 v[84:85], v[34:35], v[100:101] neg_lo:[0,1] neg_hi:[0,1]
	v_pk_add_f32 v[32:33], v[28:29], v[32:33]
	v_pk_add_f32 v[28:29], v[90:91], v[100:101]
	v_pk_fma_f32 v[42:43], v[44:45], s[14:15], v[42:43] op_sel:[1,0,0] op_sel_hi:[0,0,1] neg_lo:[1,0,0] neg_hi:[1,0,0]
	v_pk_fma_f32 v[40:41], v[44:45], s[14:15], v[96:97] op_sel:[1,0,0] op_sel_hi:[0,0,1]
	v_pk_fma_f32 v[30:31], v[38:39], 0.5, v[30:31] op_sel_hi:[1,0,1] neg_lo:[1,0,0] neg_hi:[1,0,0]
	v_pk_add_f32 v[84:85], v[94:95], v[84:85]
	v_pk_add_f32 v[28:29], v[28:29], v[34:35]
	v_mov_b32_e32 v34, v40
	v_mov_b32_e32 v35, v43
	v_pk_fma_f32 v[38:39], v[44:45], s[8:9], v[30:31] op_sel:[1,0,0] op_sel_hi:[0,0,1] neg_lo:[1,0,0] neg_hi:[1,0,0]
	v_pk_fma_f32 v[44:45], v[44:45], s[8:9], v[30:31] op_sel:[1,0,0] op_sel_hi:[0,0,1]
	v_mov_b32_e32 v43, v41
	v_pk_fma_f32 v[40:41], v[84:85], s[16:17], v[34:35] op_sel_hi:[1,0,1]
	v_pk_fma_f32 v[34:35], v[92:93], s[14:15], v[44:45] op_sel:[1,0,0] op_sel_hi:[0,0,1] neg_lo:[1,0,0] neg_hi:[1,0,0]
	v_pk_fma_f32 v[38:39], v[92:93], s[14:15], v[38:39] op_sel:[1,0,0] op_sel_hi:[0,0,1]
	v_pk_mul_f32 v[72:73], v[72:73], v[12:13]
	v_mov_b32_e32 v46, v78
	v_mov_b32_e32 v47, v81
	v_pk_fma_f32 v[30:31], v[84:85], s[16:17], v[42:43] op_sel_hi:[1,0,1]
	v_mov_b32_e32 v42, v38
	v_mov_b32_e32 v43, v35
	;; [unrolled: 1-line block ×3, first 2 shown]
	v_pk_fma_f32 v[42:43], v[32:33], s[16:17], v[42:43] op_sel_hi:[1,0,1]
	v_pk_fma_f32 v[44:45], v[32:33], s[16:17], v[34:35] op_sel_hi:[1,0,1]
	v_pk_add_f32 v[32:33], v[46:47], v[82:83]
	v_mov_b32_e32 v73, v74
	v_mov_b32_e32 v88, v77
	;; [unrolled: 1-line block ×3, first 2 shown]
	v_fma_f32 v35, -0.5, v32, v70
	v_mov_b32_e32 v32, v89
	v_add_f32_e32 v3, v36, v86
	v_pk_add_f32 v[72:73], v[72:73], v[88:89]
	v_pk_add_f32 v[38:39], v[74:75], v[32:33] neg_lo:[0,1] neg_hi:[0,1]
	v_pk_add_f32 v[84:85], v[36:37], v[78:79] neg_lo:[0,1] neg_hi:[0,1]
	v_fma_f32 v57, -0.5, v3, v70
	v_pk_add_f32 v[78:79], v[78:79], v[36:37] neg_lo:[0,1] neg_hi:[0,1]
	v_mov_b32_e32 v90, v36
	v_mov_b32_e32 v91, v74
	v_pk_add_f32 v[36:37], v[36:37], v[86:87] neg_lo:[0,1] neg_hi:[0,1]
	v_pk_add_f32 v[92:93], v[46:47], v[82:83] neg_lo:[0,1] neg_hi:[0,1]
	v_mov_b32_e32 v3, v74
	v_mov_b32_e32 v71, v72
	v_fma_f32 v34, -0.5, v33, v72
	v_fmamk_f32 v32, v38, 0x3f737871, v35
	v_pk_mul_f32 v[94:95], v[92:93], s[14:15] op_sel_hi:[1,0]
	v_pk_add_f32 v[96:97], v[2:3], v[80:81] neg_lo:[0,1] neg_hi:[0,1]
	v_pk_add_f32 v[70:71], v[70:71], v[90:91]
	v_fmamk_f32 v33, v36, 0xbf737871, v34
	v_pk_add_f32 v[98:99], v[86:87], v[82:83] neg_lo:[0,1] neg_hi:[0,1]
	v_mov_b32_e32 v85, v97
	v_pk_add_f32 v[46:47], v[70:71], v[46:47]
	v_pk_add_f32 v[70:71], v[32:33], v[94:95] op_sel:[0,1] op_sel_hi:[1,0]
	v_pk_add_f32 v[32:33], v[32:33], v[94:95] op_sel:[0,1] op_sel_hi:[1,0] neg_lo:[0,1] neg_hi:[0,1]
	v_fmac_f32_e32 v35, 0xbf737871, v38
	v_pk_add_f32 v[84:85], v[84:85], v[98:99]
	v_mov_b32_e32 v71, v33
	v_fmac_f32_e32 v34, 0x3f737871, v36
	v_pk_fma_f32 v[32:33], v[84:85], s[16:17], v[70:71] op_sel_hi:[1,0,1]
	v_pk_fma_f32 v[70:71], v[92:93], s[14:15], v[34:35] op_sel_hi:[1,0,1]
	v_pk_fma_f32 v[34:35], v[92:93], s[14:15], v[34:35] op_sel_hi:[1,0,1] neg_lo:[1,0,0] neg_hi:[1,0,0]
	v_fmac_f32_e32 v72, -0.5, v73
	v_fmamk_f32 v76, v93, 0xbf737871, v57
	v_pk_mul_f32 v[96:97], v[84:85], s[16:17] op_sel_hi:[1,0]
	v_mov_b32_e32 v71, v35
	v_fmamk_f32 v77, v92, 0x3f737871, v72
	v_mov_b32_e32 v39, v36
	v_pk_add_f32 v[34:35], v[96:97], v[70:71] op_sel:[1,0] op_sel_hi:[0,1]
	v_pk_mul_f32 v[36:37], v[38:39], s[14:15] op_sel_hi:[1,0]
	v_pk_fma_f32 v[70:71], v[38:39], s[14:15], v[76:77] op_sel_hi:[1,0,1]
	v_pk_fma_f32 v[38:39], v[38:39], s[14:15], v[76:77] op_sel_hi:[1,0,1] neg_lo:[1,0,0] neg_hi:[1,0,0]
	v_fmac_f32_e32 v57, 0x3f737871, v93
	v_mov_b32_e32 v71, v39
	v_pk_add_f32 v[38:39], v[80:81], v[2:3] neg_lo:[0,1] neg_hi:[0,1]
	v_pk_add_f32 v[74:75], v[82:83], v[86:87] neg_lo:[0,1] neg_hi:[0,1]
	v_mov_b32_e32 v79, v39
	v_pk_add_f32 v[38:39], v[78:79], v[74:75]
	v_fmac_f32_e32 v72, 0xbf737871, v92
	v_mov_b32_e32 v73, v57
	v_pk_mul_f32 v[74:75], v[38:39], s[16:17] op_sel_hi:[1,0]
	v_pk_fma_f32 v[38:39], v[38:39], s[16:17], v[70:71] op_sel_hi:[1,0,1]
	v_pk_add_f32 v[70:71], v[72:73], v[36:37] op_sel:[0,1] op_sel_hi:[1,0]
	v_pk_add_f32 v[36:37], v[72:73], v[36:37] op_sel:[0,1] op_sel_hi:[1,0] neg_lo:[0,1] neg_hi:[0,1]
	v_pk_mul_f32 v[72:73], v[32:33], s[14:15] op_sel_hi:[1,0]
	v_mov_b32_e32 v71, v37
	v_pk_add_f32 v[36:37], v[74:75], v[70:71] op_sel:[1,0] op_sel_hi:[0,1]
	v_pk_fma_f32 v[70:71], v[32:33], s[18:19], v[72:73] op_sel:[0,0,1] op_sel_hi:[1,0,0]
	v_pk_fma_f32 v[32:33], v[32:33], s[18:19], v[72:73] op_sel:[0,0,1] op_sel_hi:[1,0,0] neg_lo:[0,0,1] neg_hi:[0,0,1]
	v_pk_add_f32 v[46:47], v[46:47], v[82:83]
	v_mov_b32_e32 v71, v33
	v_pk_mul_f32 v[32:33], v[38:39], s[8:9] op_sel_hi:[1,0]
	v_pk_add_f32 v[46:47], v[46:47], v[86:87]
	v_pk_fma_f32 v[74:75], v[38:39], s[16:17], v[32:33] op_sel:[0,0,1] op_sel_hi:[1,0,0]
	v_pk_fma_f32 v[32:33], v[38:39], s[16:17], v[32:33] op_sel:[0,0,1] op_sel_hi:[1,0,0] neg_lo:[0,0,1] neg_hi:[0,0,1]
	s_nop 0
	v_mov_b32_e32 v75, v33
	v_pk_mul_f32 v[32:33], v[36:37], s[16:17] op_sel_hi:[1,0]
	s_nop 0
	v_pk_fma_f32 v[76:77], v[36:37], s[8:9], v[32:33] op_sel:[0,0,1] op_sel_hi:[1,1,0] neg_lo:[0,0,1] neg_hi:[0,0,1]
	v_pk_mul_f32 v[32:33], v[34:35], s[18:19] op_sel_hi:[1,0]
	v_pk_add_f32 v[36:37], v[42:43], v[74:75] neg_lo:[0,1] neg_hi:[0,1]
	v_pk_fma_f32 v[78:79], v[34:35], s[14:15], v[32:33] op_sel:[0,0,1] op_sel_hi:[1,1,0] neg_lo:[0,0,1] neg_hi:[0,0,1]
	v_pk_add_f32 v[32:33], v[28:29], v[46:47] neg_lo:[0,1] neg_hi:[0,1]
	v_pk_add_f32 v[34:35], v[40:41], v[70:71] neg_lo:[0,1] neg_hi:[0,1]
	v_pk_add_f32 v[38:39], v[44:45], v[76:77] neg_lo:[0,1] neg_hi:[0,1]
	v_pk_add_f32 v[72:73], v[30:31], v[78:79] neg_lo:[0,1] neg_hi:[0,1]
	s_and_saveexec_b64 s[8:9], s[0:1]
	s_cbranch_execz .LBB0_11
; %bb.10:
	v_pk_add_f32 v[28:29], v[28:29], v[46:47]
	v_pk_add_f32 v[40:41], v[40:41], v[70:71]
	ds_write2_b64 v48, v[28:29], v[40:41] offset1:35
	v_pk_add_f32 v[28:29], v[42:43], v[74:75]
	v_pk_add_f32 v[40:41], v[44:45], v[76:77]
	ds_write2_b64 v48, v[28:29], v[40:41] offset0:70 offset1:105
	v_pk_add_f32 v[28:29], v[30:31], v[78:79]
	v_add_u32_e32 v3, 0x800, v48
	ds_write2_b64 v48, v[28:29], v[32:33] offset0:140 offset1:175
	ds_write2_b64 v48, v[34:35], v[36:37] offset0:210 offset1:245
	;; [unrolled: 1-line block ×3, first 2 shown]
.LBB0_11:
	s_or_b64 exec, exec, s[8:9]
	s_waitcnt lgkmcnt(0)
	; wave barrier
	s_waitcnt lgkmcnt(0)
	global_load_dwordx2 v[30:31], v[50:51], off offset:2800
	s_add_u32 s12, s12, 0xaf0
	s_addc_u32 s13, s13, 0
	v_lshlrev_b32_e32 v28, 3, v52
	global_load_dwordx2 v[44:45], v28, s[12:13] offset:560
	global_load_dwordx2 v[46:47], v28, s[12:13] offset:1120
	;; [unrolled: 1-line block ×4, first 2 shown]
	ds_read2_b64 v[40:43], v48 offset1:70
	s_waitcnt vmcnt(4) lgkmcnt(0)
	v_mul_f32_e32 v3, v41, v31
	v_mul_f32_e32 v77, v40, v31
	v_fma_f32 v76, v40, v30, -v3
	s_waitcnt vmcnt(3)
	v_mul_f32_e32 v3, v43, v45
	v_mul_f32_e32 v31, v42, v45
	v_fmac_f32_e32 v77, v41, v30
	v_fma_f32 v30, v42, v44, -v3
	v_fmac_f32_e32 v31, v43, v44
	ds_write2_b64 v48, v[76:77], v[30:31] offset1:70
	ds_read2_b64 v[40:43], v48 offset0:140 offset1:210
	ds_read_b64 v[30:31], v48 offset:2240
	s_waitcnt vmcnt(2) lgkmcnt(1)
	v_mul_f32_e32 v3, v41, v47
	v_mul_f32_e32 v45, v40, v47
	s_waitcnt vmcnt(1)
	v_mul_f32_e32 v29, v43, v71
	v_mul_f32_e32 v47, v42, v71
	s_waitcnt vmcnt(0) lgkmcnt(0)
	v_mul_f32_e32 v57, v31, v75
	v_mul_f32_e32 v71, v30, v75
	v_fma_f32 v44, v40, v46, -v3
	v_fmac_f32_e32 v45, v41, v46
	v_fma_f32 v46, v42, v70, -v29
	v_fmac_f32_e32 v47, v43, v70
	;; [unrolled: 2-line block ×3, first 2 shown]
	ds_write2_b64 v48, v[44:45], v[46:47] offset0:140 offset1:210
	ds_write_b64 v48, v[70:71] offset:2240
	s_and_saveexec_b64 s[8:9], vcc
	s_cbranch_execz .LBB0_13
; %bb.12:
	v_mov_b32_e32 v29, 0
	v_lshl_add_u64 v[28:29], s[12:13], 0, v[28:29]
	global_load_dwordx2 v[44:45], v[28:29], off offset:400
	global_load_dwordx2 v[46:47], v[28:29], off offset:960
	;; [unrolled: 1-line block ×5, first 2 shown]
	ds_read2_b64 v[28:31], v48 offset0:50 offset1:120
	v_add_u32_e32 v3, 0x400, v48
	ds_read_b64 v[78:79], v48 offset:2640
	ds_read2_b64 v[40:43], v3 offset0:62 offset1:132
	s_waitcnt vmcnt(4) lgkmcnt(2)
	v_mul_f32_e32 v57, v29, v45
	v_mul_f32_e32 v81, v28, v45
	s_waitcnt vmcnt(3)
	v_mul_f32_e32 v82, v31, v47
	v_mul_f32_e32 v45, v30, v47
	s_waitcnt vmcnt(2) lgkmcnt(0)
	v_mul_f32_e32 v83, v41, v71
	v_mul_f32_e32 v47, v40, v71
	s_waitcnt vmcnt(1)
	v_mul_f32_e32 v84, v43, v75
	v_mul_f32_e32 v71, v42, v75
	s_waitcnt vmcnt(0)
	v_mul_f32_e32 v85, v79, v77
	v_mul_f32_e32 v75, v78, v77
	v_fma_f32 v80, v28, v44, -v57
	v_fmac_f32_e32 v81, v29, v44
	v_fma_f32 v44, v30, v46, -v82
	v_fmac_f32_e32 v45, v31, v46
	;; [unrolled: 2-line block ×5, first 2 shown]
	ds_write2_b64 v48, v[80:81], v[44:45] offset0:50 offset1:120
	ds_write2_b64 v3, v[46:47], v[70:71] offset0:62 offset1:132
	ds_write_b64 v48, v[74:75] offset:2640
.LBB0_13:
	s_or_b64 exec, exec, s[8:9]
	s_waitcnt lgkmcnt(0)
	; wave barrier
	s_waitcnt lgkmcnt(0)
	ds_read2_b64 v[40:43], v48 offset1:70
	ds_read2_b64 v[44:47], v48 offset0:140 offset1:210
	ds_read_b64 v[74:75], v48 offset:2240
	s_and_saveexec_b64 s[8:9], vcc
	s_cbranch_execz .LBB0_15
; %bb.14:
	v_add_u32_e32 v3, 0x400, v48
	ds_read2_b64 v[32:35], v48 offset0:50 offset1:120
	ds_read2_b64 v[36:39], v3 offset0:62 offset1:132
	ds_read_b64 v[72:73], v48 offset:2640
.LBB0_15:
	s_or_b64 exec, exec, s[8:9]
	s_waitcnt lgkmcnt(0)
	v_pk_add_f32 v[28:29], v[34:35], v[72:73] neg_lo:[0,1] neg_hi:[0,1]
	v_pk_add_f32 v[30:31], v[36:37], v[38:39]
	s_mov_b32 s12, 0x3f737871
	v_pk_add_f32 v[70:71], v[36:37], v[38:39] neg_lo:[0,1] neg_hi:[0,1]
	v_pk_fma_f32 v[30:31], v[30:31], 0.5, v[32:33] op_sel_hi:[1,0,1] neg_lo:[1,0,0] neg_hi:[1,0,0]
	v_pk_mul_f32 v[78:79], v[28:29], s[12:13] op_sel_hi:[1,0]
	s_mov_b32 s14, 0x3f167918
	v_pk_add_f32 v[76:77], v[34:35], v[36:37] neg_lo:[0,1] neg_hi:[0,1]
	v_pk_add_f32 v[82:83], v[72:73], v[38:39] neg_lo:[0,1] neg_hi:[0,1]
	v_pk_add_f32 v[86:87], v[34:35], v[72:73]
	v_pk_mul_f32 v[80:81], v[70:71], s[14:15] op_sel_hi:[1,0]
	v_pk_add_f32 v[82:83], v[76:77], v[82:83]
	v_pk_add_f32 v[76:77], v[30:31], v[78:79] op_sel:[0,1] op_sel_hi:[1,0]
	v_pk_add_f32 v[78:79], v[30:31], v[78:79] op_sel:[0,1] op_sel_hi:[1,0] neg_lo:[0,1] neg_hi:[0,1]
	v_pk_add_f32 v[30:31], v[76:77], v[80:81] op_sel:[0,1] op_sel_hi:[1,0]
	v_pk_add_f32 v[92:93], v[78:79], v[80:81] op_sel:[0,1] op_sel_hi:[1,0] neg_lo:[0,1] neg_hi:[0,1]
	v_pk_fma_f32 v[86:87], v[86:87], 0.5, v[32:33] op_sel_hi:[1,0,1] neg_lo:[1,0,0] neg_hi:[1,0,0]
	v_pk_mul_f32 v[70:71], v[70:71], s[12:13] op_sel_hi:[1,0]
	v_mov_b32_e32 v31, v93
	v_pk_add_f32 v[92:93], v[86:87], v[70:71] op_sel:[0,1] op_sel_hi:[1,0]
	v_pk_add_f32 v[70:71], v[86:87], v[70:71] op_sel:[0,1] op_sel_hi:[1,0] neg_lo:[0,1] neg_hi:[0,1]
	v_pk_mul_f32 v[28:29], v[28:29], s[14:15] op_sel_hi:[1,0]
	v_pk_add_f32 v[88:89], v[36:37], v[34:35] neg_lo:[0,1] neg_hi:[0,1]
	v_pk_add_f32 v[90:91], v[38:39], v[72:73] neg_lo:[0,1] neg_hi:[0,1]
	v_pk_add_f32 v[86:87], v[70:71], v[28:29] op_sel:[0,1] op_sel_hi:[1,0]
	v_pk_add_f32 v[28:29], v[92:93], v[28:29] op_sel:[0,1] op_sel_hi:[1,0] neg_lo:[0,1] neg_hi:[0,1]
	s_mov_b32 s8, 0x3e9e377a
	v_mov_b32_e32 v70, v28
	v_mov_b32_e32 v71, v87
	v_pk_add_f32 v[88:89], v[88:89], v[90:91]
	v_mov_b32_e32 v87, v29
	v_pk_fma_f32 v[70:71], v[88:89], s[8:9], v[70:71] op_sel_hi:[1,0,1]
	v_pk_fma_f32 v[28:29], v[88:89], s[8:9], v[86:87] op_sel_hi:[1,0,1]
	v_pk_add_f32 v[86:87], v[44:45], v[46:47]
	v_pk_add_f32 v[88:89], v[42:43], v[74:75] neg_lo:[0,1] neg_hi:[0,1]
	v_pk_fma_f32 v[86:87], v[86:87], 0.5, v[40:41] op_sel_hi:[1,0,1] neg_lo:[1,0,0] neg_hi:[1,0,0]
	v_pk_mul_f32 v[90:91], v[88:89], s[12:13] op_sel_hi:[1,0]
	v_pk_add_f32 v[92:93], v[44:45], v[46:47] neg_lo:[0,1] neg_hi:[0,1]
	v_pk_add_f32 v[96:97], v[42:43], v[44:45] neg_lo:[0,1] neg_hi:[0,1]
	;; [unrolled: 1-line block ×3, first 2 shown]
	v_pk_add_f32 v[84:85], v[40:41], v[42:43]
	v_pk_mul_f32 v[94:95], v[92:93], s[14:15] op_sel_hi:[1,0]
	v_pk_add_f32 v[96:97], v[96:97], v[98:99]
	v_pk_add_f32 v[98:99], v[86:87], v[90:91] op_sel:[0,1] op_sel_hi:[1,0] neg_lo:[0,1] neg_hi:[0,1]
	v_pk_add_f32 v[86:87], v[86:87], v[90:91] op_sel:[0,1] op_sel_hi:[1,0]
	v_pk_add_f32 v[84:85], v[84:85], v[44:45]
	v_pk_add_f32 v[86:87], v[86:87], v[94:95] op_sel:[0,1] op_sel_hi:[1,0]
	v_pk_add_f32 v[90:91], v[98:99], v[94:95] op_sel:[0,1] op_sel_hi:[1,0] neg_lo:[0,1] neg_hi:[0,1]
	v_pk_add_f32 v[84:85], v[84:85], v[46:47]
	v_mov_b32_e32 v94, v90
	v_mov_b32_e32 v95, v87
	v_pk_add_f32 v[84:85], v[84:85], v[74:75]
	v_pk_fma_f32 v[94:95], v[96:97], s[8:9], v[94:95] op_sel_hi:[1,0,1]
	s_waitcnt lgkmcnt(0)
	; wave barrier
	ds_write2_b64 v49, v[84:85], v[94:95] offset1:1
	v_pk_add_f32 v[84:85], v[42:43], v[74:75]
	v_pk_add_f32 v[42:43], v[44:45], v[42:43] neg_lo:[0,1] neg_hi:[0,1]
	v_pk_add_f32 v[44:45], v[46:47], v[74:75] neg_lo:[0,1] neg_hi:[0,1]
	v_pk_fma_f32 v[40:41], v[84:85], 0.5, v[40:41] op_sel_hi:[1,0,1] neg_lo:[1,0,0] neg_hi:[1,0,0]
	v_pk_add_f32 v[42:43], v[42:43], v[44:45]
	v_pk_mul_f32 v[44:45], v[92:93], s[12:13] op_sel_hi:[1,0]
	v_pk_mul_f32 v[46:47], v[88:89], s[14:15] op_sel_hi:[1,0]
	v_pk_add_f32 v[74:75], v[40:41], v[44:45] op_sel:[0,1] op_sel_hi:[1,0]
	v_pk_add_f32 v[40:41], v[40:41], v[44:45] op_sel:[0,1] op_sel_hi:[1,0] neg_lo:[0,1] neg_hi:[0,1]
	v_pk_add_f32 v[44:45], v[74:75], v[46:47] op_sel:[0,1] op_sel_hi:[1,0] neg_lo:[0,1] neg_hi:[0,1]
	v_pk_add_f32 v[40:41], v[40:41], v[46:47] op_sel:[0,1] op_sel_hi:[1,0]
	v_mov_b32_e32 v46, v44
	v_mov_b32_e32 v47, v41
	;; [unrolled: 1-line block ×3, first 2 shown]
	v_pk_fma_f32 v[46:47], v[42:43], s[8:9], v[46:47] op_sel_hi:[1,0,1]
	v_pk_fma_f32 v[40:41], v[42:43], s[8:9], v[40:41] op_sel_hi:[1,0,1]
	v_mov_b32_e32 v87, v91
	v_pk_fma_f32 v[30:31], v[82:83], s[8:9], v[30:31] op_sel_hi:[1,0,1]
	ds_write2_b64 v49, v[46:47], v[40:41] offset0:2 offset1:3
	v_pk_fma_f32 v[40:41], v[96:97], s[8:9], v[86:87] op_sel_hi:[1,0,1]
	ds_write_b64 v49, v[40:41] offset:32
	s_and_saveexec_b64 s[12:13], vcc
	s_cbranch_execz .LBB0_17
; %bb.16:
	v_mov_b32_e32 v40, v81
	v_mov_b32_e32 v41, v80
	v_pk_add_f32 v[32:33], v[32:33], v[34:35]
	v_pk_add_f32 v[34:35], v[78:79], v[40:41] neg_lo:[0,1] neg_hi:[0,1]
	v_pk_add_f32 v[32:33], v[32:33], v[36:37]
	v_pk_add_f32 v[36:37], v[76:77], v[40:41]
	v_pk_mul_f32 v[42:43], v[82:83], s[8:9] op_sel_hi:[1,0]
	v_pk_add_f32 v[32:33], v[32:33], v[38:39]
	v_mov_b32_e32 v35, v37
	v_lshlrev_b32_e32 v3, 3, v53
	v_pk_add_f32 v[32:33], v[32:33], v[72:73]
	v_pk_add_f32 v[34:35], v[42:43], v[34:35]
	ds_write2_b64 v3, v[32:33], v[34:35] offset1:1
	ds_write2_b64 v3, v[70:71], v[28:29] offset0:2 offset1:3
	ds_write_b64 v3, v[30:31] offset:32
.LBB0_17:
	s_or_b64 exec, exec, s[12:13]
	s_waitcnt lgkmcnt(0)
	; wave barrier
	s_waitcnt lgkmcnt(0)
	ds_read2_b64 v[32:35], v48 offset1:50
	ds_read2_b64 v[36:39], v48 offset0:100 offset1:150
	ds_read2_b64 v[40:43], v48 offset0:200 offset1:250
	ds_read_b64 v[46:47], v48 offset:2400
	v_mov_b32_e32 v82, v11
	s_waitcnt lgkmcnt(3)
	v_pk_mul_f32 v[44:45], v[8:9], v[34:35]
	s_waitcnt lgkmcnt(2)
	v_pk_mul_f32 v[82:83], v[82:83], v[36:37] op_sel_hi:[0,1]
	v_pk_fma_f32 v[84:85], v[10:11], v[36:37], v[82:83] op_sel:[0,0,1] op_sel_hi:[1,1,0]
	v_pk_fma_f32 v[10:11], v[10:11], v[36:37], v[82:83] op_sel:[0,0,1] op_sel_hi:[0,1,0] neg_lo:[0,0,1] neg_hi:[0,0,1]
	v_mov_b32_e32 v10, v5
	s_waitcnt lgkmcnt(0)
	v_pk_mul_f32 v[80:81], v[6:7], v[46:47]
	v_mov_b32_e32 v85, v11
	v_pk_mul_f32 v[10:11], v[10:11], v[42:43] op_sel_hi:[0,1]
	v_mov_b32_e32 v44, v45
	v_mov_b32_e32 v80, v81
	v_pk_fma_f32 v[36:37], v[66:67], v[42:43], v[10:11] op_sel:[1,0,1] op_sel_hi:[1,1,0]
	v_pk_fma_f32 v[10:11], v[66:67], v[42:43], v[10:11] op_sel:[1,0,1] op_sel_hi:[1,1,0] neg_lo:[0,0,1] neg_hi:[0,0,1]
	v_pk_fma_f32 v[44:45], v[8:9], v[34:35], v[44:45]
	v_pk_fma_f32 v[80:81], v[6:7], v[46:47], v[80:81]
	v_mov_b32_e32 v37, v11
	v_mul_f32_e32 v72, v0, v38
	v_mul_f32_e32 v74, v1, v39
	v_mov_b32_e32 v10, v84
	v_mov_b32_e32 v11, v44
	;; [unrolled: 1-line block ×6, first 2 shown]
	v_pk_add_f32 v[10:11], v[10:11], v[42:43]
	v_pk_add_f32 v[42:43], v[84:85], v[36:37] neg_lo:[0,1] neg_hi:[0,1]
	v_pk_add_f32 v[36:37], v[72:73], v[74:75]
	v_mov_b32_e32 v73, v80
	v_mov_b32_e32 v74, v8
	;; [unrolled: 1-line block ×6, first 2 shown]
	v_mul_f32_e32 v76, v2, v40
	v_pk_mul_f32 v[8:9], v[8:9], v[34:35]
	v_mov_b32_e32 v35, v0
	v_mov_b32_e32 v40, v47
	;; [unrolled: 1-line block ×4, first 2 shown]
	v_mul_f32_e32 v78, v66, v41
	v_mov_b32_e32 v75, v2
	v_mov_b32_e32 v81, v41
	;; [unrolled: 1-line block ×4, first 2 shown]
	v_pk_mul_f32 v[0:1], v[0:1], v[46:47]
	v_pk_fma_f32 v[8:9], v[74:75], v[80:81], v[8:9] neg_lo:[0,0,1] neg_hi:[0,0,1]
	v_pk_fma_f32 v[0:1], v[34:35], v[40:41], v[0:1] neg_lo:[0,0,1] neg_hi:[0,0,1]
	v_mov_b32_e32 v77, v8
	v_mov_b32_e32 v79, v0
	v_pk_add_f32 v[6:7], v[8:9], v[0:1] neg_lo:[0,1] neg_hi:[0,1]
	v_pk_add_f32 v[34:35], v[76:77], v[78:79]
	v_mov_b32_e32 v8, v11
	v_mov_b32_e32 v0, v10
	v_pk_add_f32 v[8:9], v[0:1], v[8:9]
	v_pk_add_f32 v[0:1], v[36:37], v[34:35]
	v_sub_f32_e32 v5, v10, v11
	v_sub_f32_e32 v2, v11, v0
	v_pk_add_f32 v[10:11], v[0:1], v[10:11] neg_lo:[0,1] neg_hi:[0,1]
	v_pk_add_f32 v[46:47], v[8:9], v[0:1]
	v_sub_f32_e32 v49, v43, v6
	v_pk_add_f32 v[0:1], v[32:33], v[46:47]
	s_mov_b32 s14, 0xbf955555
	v_mul_f32_e32 v11, 0x3d64c772, v10
	v_mul_f32_e32 v3, 0x3f3bfb3b, v5
	v_mov_b32_e32 v38, v34
	v_mov_b32_e32 v39, v44
	;; [unrolled: 1-line block ×4, first 2 shown]
	v_pk_add_f32 v[44:45], v[34:35], v[8:9] neg_lo:[0,1] neg_hi:[0,1]
	v_mul_f32_e32 v8, 0xbf4a47b2, v2
	v_mov_b32_e32 v33, v46
	v_mov_b32_e32 v46, v47
	;; [unrolled: 1-line block ×3, first 2 shown]
	s_mov_b32 s15, 0xbd64c772
	s_mov_b32 s16, 0xbeae86e6
	v_mul_f32_e32 v34, 0xbf5ff5aa, v49
	v_fmac_f32_e32 v11, 0x3f4a47b2, v2
	v_mov_b32_e32 v2, v1
	s_mov_b32 s8, 0x3d64c772
	v_mov_b32_e32 v72, v36
	v_pk_add_f32 v[40:41], v[6:7], v[40:41] neg_lo:[0,1] neg_hi:[0,1]
	s_mov_b32 s17, 0x3f08b237
	v_pk_fma_f32 v[2:3], v[46:47], s[14:15], v[2:3]
	v_xor_b32_e32 v46, 0x80000000, v34
	v_mov_b32_e32 v36, v9
	v_mov_b32_e32 v34, v37
	s_mov_b32 s9, 0x3f3bfb3b
	v_pk_mul_f32 v[66:67], v[40:41], s[16:17]
	v_fmamk_f32 v10, v5, 0xbf3bfb3b, v8
	v_pk_add_f32 v[8:9], v[36:37], v[34:35] neg_lo:[0,1] neg_hi:[0,1]
	s_mov_b32 s12, 0x3f4a47b2
	s_mov_b32 s18, 0xbf5ff5aa
	v_mov_b32_e32 v47, v66
	v_pk_mul_f32 v[34:35], v[8:9], s[8:9]
	v_mov_b32_e32 v32, v45
	s_mov_b32 s13, 0x3f955555
	v_fma_f32 v5, v49, s18, -v67
	v_pk_fma_f32 v[66:67], v[40:41], s[16:17], v[46:47] neg_lo:[1,0,0] neg_hi:[1,0,0]
	v_pk_fma_f32 v[40:41], v[40:41], s[16:17], v[46:47]
	v_mov_b32_e32 v36, v34
	v_mov_b32_e32 v37, v0
	;; [unrolled: 1-line block ×3, first 2 shown]
	v_pk_fma_f32 v[40:41], v[32:33], s[12:13], v[34:35]
	v_pk_fma_f32 v[32:33], v[32:33], s[12:13], v[36:37] neg_lo:[1,0,0] neg_hi:[1,0,0]
	v_pk_add_f32 v[36:37], v[38:39], v[72:73] neg_lo:[0,1] neg_hi:[0,1]
	v_mov_b32_e32 v41, v33
	v_pk_add_f32 v[10:11], v[10:11], v[32:33] op_sel:[0,1]
	v_mov_b32_e32 v32, v36
	v_mov_b32_e32 v33, v7
	v_pk_add_f32 v[32:33], v[32:33], v[42:43]
	v_mov_b32_e32 v38, v37
	v_mov_b32_e32 v39, v6
	v_pk_add_f32 v[6:7], v[32:33], v[38:39]
	s_mov_b32 s12, 0xbee1c552
	v_pk_mul_f32 v[38:39], v[6:7], s[12:13] op_sel_hi:[1,0]
	v_mov_b32_e32 v43, v36
	v_pk_add_f32 v[46:47], v[38:39], v[66:67] op_sel:[1,0]
	v_pk_add_f32 v[66:67], v[36:37], v[42:43] neg_lo:[0,1] neg_hi:[0,1]
	s_mov_b32 s14, s17
	s_mov_b32 s15, s16
	v_pk_mul_f32 v[72:73], v[66:67], s[14:15]
	v_mul_f32_e32 v45, 0xbf4a47b2, v45
	v_mov_b32_e32 v34, v73
	v_pk_fma_f32 v[72:73], v[66:67], s[14:15], v[34:35]
	v_pk_add_f32 v[32:33], v[46:47], v[10:11]
	v_mov_b32_e32 v73, v5
	v_sub_f32_e32 v5, v42, v37
	v_pk_fma_f32 v[72:73], v[6:7], s[12:13], v[72:73] op_sel_hi:[1,0,1]
	v_mov_b32_e32 v7, v10
	v_mul_f32_e32 v10, 0xbf5ff5aa, v5
	v_mov_b32_e32 v44, v35
	v_pk_fma_f32 v[8:9], v[8:9], s[8:9], v[44:45] neg_lo:[1,0,0] neg_hi:[1,0,0]
	v_pk_fma_f32 v[34:35], v[66:67], s[14:15], v[10:11] op_sel_hi:[1,1,0] neg_lo:[1,0,0] neg_hi:[1,0,1]
	v_pk_add_f32 v[40:41], v[40:41], v[2:3]
	v_pk_add_f32 v[8:9], v[8:9], v[2:3] op_sel_hi:[1,0]
	v_pk_add_f32 v[36:37], v[38:39], v[34:35] op_sel_hi:[0,1]
	v_mov_b32_e32 v2, v9
	v_mov_b32_e32 v3, v40
	;; [unrolled: 1-line block ×7, first 2 shown]
	v_pk_add_f32 v[2:3], v[2:3], v[34:35] neg_lo:[0,1] neg_hi:[0,1]
	v_pk_add_f32 v[34:35], v[36:37], v[8:9]
	v_mov_b32_e32 v10, v11
	v_mov_b32_e32 v11, v8
	;; [unrolled: 1-line block ×4, first 2 shown]
	v_pk_add_f32 v[6:7], v[6:7], v[74:75] neg_lo:[0,1] neg_hi:[0,1]
	v_pk_add_f32 v[8:9], v[10:11], v[8:9] neg_lo:[0,1] neg_hi:[0,1]
	v_mov_b32_e32 v10, v33
	v_mov_b32_e32 v11, v3
	v_pk_add_f32 v[36:37], v[72:73], v[40:41]
	s_waitcnt lgkmcnt(0)
	; wave barrier
	ds_write2_b64 v4, v[0:1], v[10:11] offset1:5
	v_mov_b32_e32 v10, v32
	v_mov_b32_e32 v11, v2
	;; [unrolled: 1-line block ×4, first 2 shown]
	ds_write2_b64 v4, v[10:11], v[38:39] offset0:10 offset1:15
	v_mov_b32_e32 v10, v37
	v_mov_b32_e32 v11, v9
	;; [unrolled: 1-line block ×4, first 2 shown]
	ds_write2_b64 v4, v[10:11], v[38:39] offset0:20 offset1:25
	v_mov_b32_e32 v10, v8
	v_mov_b32_e32 v11, v36
	ds_write_b64 v4, v[10:11] offset:240
	s_waitcnt lgkmcnt(0)
	; wave barrier
	s_waitcnt lgkmcnt(0)
	s_and_saveexec_b64 s[8:9], s[2:3]
	s_xor_b64 s[2:3], exec, s[8:9]
	s_andn2_saveexec_b64 s[2:3], s[2:3]
	s_cbranch_execz .LBB0_19
; %bb.18:
	ds_read2_b64 v[0:3], v48 offset1:35
	ds_read2_b64 v[4:7], v48 offset0:70 offset1:105
	ds_read2_b64 v[38:41], v48 offset0:140 offset1:175
	;; [unrolled: 1-line block ×3, first 2 shown]
	v_add_u32_e32 v28, 0x800, v48
	ds_read2_b64 v[28:31], v28 offset0:24 offset1:59
	s_waitcnt lgkmcnt(3)
	v_mov_b32_e32 v34, v7
	s_waitcnt lgkmcnt(2)
	v_mov_b32_e32 v35, v41
	;; [unrolled: 2-line block ×3, first 2 shown]
	v_mov_b32_e32 v37, v38
	v_mov_b32_e32 v32, v4
	v_mov_b32_e32 v33, v2
	v_mov_b32_e32 v7, v40
	v_mov_b32_e32 v9, v39
	v_mov_b32_e32 v2, v5
	v_mov_b64_e32 v[70:71], v[10:11]
.LBB0_19:
	s_or_b64 exec, exec, s[2:3]
	s_and_saveexec_b64 s[2:3], s[0:1]
	s_cbranch_execz .LBB0_21
; %bb.20:
	v_pk_mul_f32 v[4:5], v[14:15], v[2:3] op_sel_hi:[1,0]
	v_pk_mul_f32 v[10:11], v[26:27], v[8:9] op_sel:[0,1]
	v_pk_fma_f32 v[66:67], v[14:15], v[32:33], v[4:5] op_sel:[0,0,1] op_sel_hi:[1,1,0]
	v_pk_fma_f32 v[4:5], v[14:15], v[32:33], v[4:5] op_sel:[0,0,1] op_sel_hi:[1,0,0] neg_lo:[1,0,0] neg_hi:[1,0,0]
	s_waitcnt lgkmcnt(0)
	v_pk_mul_f32 v[38:39], v[18:19], v[28:29] op_sel:[0,1]
	v_mov_b32_e32 v67, v5
	v_pk_fma_f32 v[4:5], v[26:27], v[36:37], v[10:11] op_sel:[0,1,1] op_sel_hi:[1,1,0]
	v_pk_fma_f32 v[10:11], v[26:27], v[36:37], v[10:11] op_sel:[0,1,1] op_sel_hi:[1,1,0] neg_lo:[1,0,0] neg_hi:[1,0,0]
	v_pk_mul_f32 v[40:41], v[22:23], v[36:37] op_sel_hi:[1,0]
	v_mov_b32_e32 v5, v11
	v_pk_fma_f32 v[10:11], v[18:19], v[28:29], v[38:39] op_sel:[0,0,1] op_sel_hi:[1,1,0]
	v_pk_fma_f32 v[14:15], v[18:19], v[28:29], v[38:39] op_sel:[0,0,1] op_sel_hi:[1,0,0] neg_lo:[1,0,0] neg_hi:[1,0,0]
	v_pk_mul_f32 v[42:43], v[24:25], v[34:35] op_sel_hi:[1,0]
	v_pk_mul_f32 v[34:35], v[20:21], v[34:35] op_sel:[0,1]
	v_pk_mul_f32 v[44:45], v[68:69], v[30:31] op_sel:[0,1]
	;; [unrolled: 1-line block ×3, first 2 shown]
	v_mov_b32_e32 v11, v15
	v_pk_fma_f32 v[14:15], v[22:23], v[8:9], v[40:41] op_sel:[0,0,1] op_sel_hi:[1,1,0]
	v_pk_fma_f32 v[8:9], v[22:23], v[8:9], v[40:41] op_sel:[0,0,1] op_sel_hi:[1,0,0] neg_lo:[1,0,0] neg_hi:[1,0,0]
	v_pk_fma_f32 v[18:19], v[24:25], v[6:7], v[42:43] op_sel:[0,0,1] op_sel_hi:[1,0,0] neg_lo:[1,0,0] neg_hi:[1,0,0]
	v_mov_b32_e32 v15, v9
	v_pk_fma_f32 v[8:9], v[24:25], v[6:7], v[42:43] op_sel:[0,0,1] op_sel_hi:[1,1,0]
	v_pk_fma_f32 v[22:23], v[20:21], v[6:7], v[34:35] op_sel:[0,1,1] op_sel_hi:[1,1,0]
	v_pk_fma_f32 v[6:7], v[20:21], v[6:7], v[34:35] op_sel:[0,1,1] op_sel_hi:[1,1,0] neg_lo:[1,0,0] neg_hi:[1,0,0]
	v_pk_fma_f32 v[20:21], v[68:69], v[30:31], v[44:45] op_sel:[0,0,1] op_sel_hi:[1,1,0]
	v_pk_fma_f32 v[26:27], v[16:17], v[70:71], v[46:47] op_sel:[0,0,1] op_sel_hi:[1,1,0]
	v_pk_fma_f32 v[24:25], v[68:69], v[30:31], v[44:45] op_sel:[0,0,1] op_sel_hi:[1,0,0] neg_lo:[1,0,0] neg_hi:[1,0,0]
	v_mov_b32_e32 v28, v8
	v_mov_b32_e32 v29, v20
	;; [unrolled: 1-line block ×4, first 2 shown]
	v_pk_fma_f32 v[16:17], v[16:17], v[70:71], v[46:47] op_sel:[0,0,1] op_sel_hi:[1,0,0] neg_lo:[1,0,0] neg_hi:[1,0,0]
	v_pk_add_f32 v[34:35], v[28:29], v[30:31] neg_lo:[0,1] neg_hi:[0,1]
	v_mov_b32_e32 v24, v19
	v_mov_b32_e32 v6, v35
	v_mov_b32_e32 v16, v7
	v_mov_b32_e32 v23, v7
	v_mov_b32_e32 v27, v17
	v_pk_add_f32 v[34:35], v[34:35], v[6:7]
	v_pk_add_f32 v[6:7], v[24:25], v[16:17] neg_lo:[0,1] neg_hi:[0,1]
	v_pk_add_f32 v[28:29], v[30:31], v[28:29] neg_lo:[0,1] neg_hi:[0,1]
	;; [unrolled: 1-line block ×3, first 2 shown]
	v_pk_mul_f32 v[2:3], v[12:13], v[2:3] op_sel:[0,1]
	v_mov_b32_e32 v9, v19
	v_mov_b32_e32 v21, v25
	;; [unrolled: 1-line block ×4, first 2 shown]
	v_pk_add_f32 v[36:37], v[22:23], v[26:27]
	v_pk_fma_f32 v[38:39], v[12:13], v[32:33], v[2:3] op_sel:[0,1,1] op_sel_hi:[1,1,0]
	v_pk_fma_f32 v[2:3], v[12:13], v[32:33], v[2:3] op_sel:[0,1,1] op_sel_hi:[1,1,0] neg_lo:[1,0,0] neg_hi:[1,0,0]
	v_pk_add_f32 v[12:13], v[8:9], v[20:21] neg_lo:[0,1] neg_hi:[0,1]
	s_mov_b32 s0, 0x3e9e377a
	v_mov_b32_e32 v18, v7
	v_pk_add_f32 v[28:29], v[28:29], v[30:31]
	v_pk_add_f32 v[30:31], v[8:9], v[20:21]
	v_pk_add_f32 v[16:17], v[16:17], v[24:25]
	v_mov_b32_e32 v39, v3
	v_pk_add_f32 v[32:33], v[22:23], v[26:27] neg_lo:[0,1] neg_hi:[0,1]
	s_mov_b32 s1, 0x3f167918
	v_pk_add_f32 v[6:7], v[6:7], v[18:19]
	v_fma_f32 v19, -0.5, v37, v3
	v_fmac_f32_e32 v3, -0.5, v31
	v_mov_b32_e32 v17, v12
	v_fma_f32 v36, -0.5, v36, v38
	v_mov_b32_e32 v35, v33
	v_mov_b32_e32 v37, v38
	v_fmamk_f32 v24, v32, 0x3f737871, v3
	v_pk_mul_f32 v[16:17], v[16:17], s[0:1]
	v_fmac_f32_e32 v3, 0xbf737871, v32
	v_pk_add_f32 v[8:9], v[8:9], v[38:39]
	v_fmamk_f32 v2, v13, 0x3f737871, v36
	v_pk_mul_f32 v[34:35], v[34:35], s[0:1]
	v_mov_b32_e32 v7, v32
	v_mov_b32_e32 v29, v13
	v_fmac_f32_e32 v37, -0.5, v30
	v_sub_f32_e32 v24, v24, v17
	v_add_f32_e32 v3, v17, v3
	v_fmac_f32_e32 v36, 0xbf737871, v13
	v_pk_add_f32 v[8:9], v[22:23], v[8:9]
	s_mov_b32 s8, 0x3f737871
	v_add_f32_e32 v2, v35, v2
	v_fmamk_f32 v18, v12, 0xbf737871, v19
	v_pk_mul_f32 v[6:7], v[6:7], s[0:1]
	v_pk_mul_f32 v[28:29], v[28:29], s[0:1]
	v_fmamk_f32 v30, v33, 0xbf737871, v37
	v_add_f32_e32 v24, v16, v24
	v_fmac_f32_e32 v37, 0x3f737871, v33
	v_add_f32_e32 v16, v16, v3
	v_sub_f32_e32 v3, v36, v35
	v_fmac_f32_e32 v19, 0x3f737871, v12
	v_pk_add_f32 v[8:9], v[26:27], v[8:9]
	v_pk_add_f32 v[22:23], v[14:15], v[4:5]
	v_pk_add_f32 v[26:27], v[66:67], v[10:11] neg_lo:[0,1] neg_hi:[0,1]
	v_add_f32_e32 v2, v34, v2
	v_sub_f32_e32 v18, v18, v7
	v_sub_f32_e32 v25, v37, v29
	v_add_f32_e32 v32, v34, v3
	v_add_f32_e32 v3, v7, v19
	v_pk_fma_f32 v[22:23], v[22:23], 0.5, v[0:1] op_sel_hi:[1,0,1] neg_lo:[1,0,0] neg_hi:[1,0,0]
	v_pk_mul_f32 v[34:35], v[26:27], s[8:9] op_sel_hi:[1,0]
	v_pk_add_f32 v[36:37], v[4:5], v[14:15] neg_lo:[0,1] neg_hi:[0,1]
	s_mov_b32 s12, s1
	v_pk_add_f32 v[40:41], v[66:67], v[4:5] neg_lo:[0,1] neg_hi:[0,1]
	v_pk_add_f32 v[42:43], v[10:11], v[14:15] neg_lo:[0,1] neg_hi:[0,1]
	s_mov_b32 s14, 0x3f4f1bbd
	v_add_f32_e32 v18, v6, v18
	v_add_f32_e32 v6, v6, v3
	v_pk_add_f32 v[12:13], v[66:67], v[0:1]
	v_pk_mul_f32 v[38:39], v[36:37], s[12:13] op_sel_hi:[1,0]
	v_pk_add_f32 v[40:41], v[42:43], v[40:41]
	v_pk_add_f32 v[42:43], v[22:23], v[34:35] op_sel:[0,1] op_sel_hi:[1,0] neg_lo:[0,1] neg_hi:[0,1]
	v_pk_add_f32 v[22:23], v[22:23], v[34:35] op_sel:[0,1] op_sel_hi:[1,0]
	s_mov_b32 s16, s1
	s_mov_b32 s17, s14
	v_pk_add_f32 v[12:13], v[4:5], v[12:13]
	v_pk_add_f32 v[22:23], v[22:23], v[38:39] op_sel:[0,1] op_sel_hi:[1,0]
	v_pk_add_f32 v[34:35], v[42:43], v[38:39] op_sel:[0,1] op_sel_hi:[1,0] neg_lo:[0,1] neg_hi:[0,1]
	s_mov_b32 s15, s1
	v_pk_mul_f32 v[6:7], v[6:7], s[16:17] op_sel_hi:[0,1]
	v_pk_add_f32 v[12:13], v[14:15], v[12:13]
	v_mov_b32_e32 v38, v34
	v_mov_b32_e32 v39, v23
	v_pk_fma_f32 v[42:43], v[32:33], s[14:15], v[6:7] neg_lo:[0,0,1] neg_hi:[0,0,1]
	v_pk_fma_f32 v[6:7], v[32:33], s[14:15], v[6:7] op_sel_hi:[0,1,1]
	v_pk_add_f32 v[12:13], v[10:11], v[12:13]
	v_pk_add_f32 v[8:9], v[20:21], v[8:9]
	v_pk_fma_f32 v[38:39], v[40:41], s[0:1], v[38:39] op_sel_hi:[1,0,1]
	v_mov_b32_e32 v43, v7
	v_pk_add_f32 v[20:21], v[12:13], v[8:9]
	v_pk_add_f32 v[6:7], v[38:39], v[42:43]
	ds_write2_b64 v48, v[20:21], v[6:7] offset1:35
	v_pk_add_f32 v[4:5], v[4:5], v[66:67] neg_lo:[0,1] neg_hi:[0,1]
	v_pk_add_f32 v[6:7], v[14:15], v[10:11] neg_lo:[0,1] neg_hi:[0,1]
	v_add_f32_e32 v30, v29, v30
	v_pk_add_f32 v[4:5], v[6:7], v[4:5]
	v_pk_add_f32 v[6:7], v[10:11], v[66:67]
	s_mov_b32 s9, s0
	v_add_f32_e32 v30, v28, v30
	v_add_f32_e32 v28, v28, v25
	v_pk_fma_f32 v[0:1], v[6:7], 0.5, v[0:1] op_sel_hi:[1,0,1] neg_lo:[1,0,0] neg_hi:[1,0,0]
	s_mov_b32 s14, s0
	s_mov_b32 s15, s8
	v_pk_mul_f32 v[6:7], v[16:17], s[8:9] op_sel_hi:[0,1]
	v_pk_fma_f32 v[10:11], v[28:29], s[14:15], v[6:7] neg_lo:[0,0,1] neg_hi:[0,0,1]
	v_pk_fma_f32 v[6:7], v[28:29], s[14:15], v[6:7] op_sel_hi:[0,1,1]
	v_mov_b32_e32 v11, v7
	v_pk_mul_f32 v[6:7], v[36:37], s[8:9] op_sel_hi:[1,0]
	v_pk_mul_f32 v[14:15], v[26:27], s[12:13] op_sel_hi:[1,0]
	v_pk_add_f32 v[16:17], v[0:1], v[6:7] op_sel:[0,1] op_sel_hi:[1,0]
	v_pk_add_f32 v[0:1], v[0:1], v[6:7] op_sel:[0,1] op_sel_hi:[1,0] neg_lo:[0,1] neg_hi:[0,1]
	v_pk_add_f32 v[6:7], v[16:17], v[14:15] op_sel:[0,1] op_sel_hi:[1,0] neg_lo:[0,1] neg_hi:[0,1]
	v_pk_add_f32 v[0:1], v[0:1], v[14:15] op_sel:[0,1] op_sel_hi:[1,0]
	v_mov_b32_e32 v14, v6
	v_mov_b32_e32 v15, v1
	s_mov_b32 s12, 0xbe9e377a
	s_mov_b32 s13, s8
	v_pk_mul_f32 v[20:21], v[24:25], s[8:9] op_sel_hi:[0,1]
	v_mov_b32_e32 v1, v7
	v_pk_fma_f32 v[14:15], v[4:5], s[0:1], v[14:15] op_sel_hi:[1,0,1]
	v_pk_fma_f32 v[20:21], v[30:31], s[12:13], v[20:21] op_sel_hi:[0,1,1] neg_lo:[0,0,1] neg_hi:[0,0,1]
	v_pk_fma_f32 v[0:1], v[4:5], s[0:1], v[0:1] op_sel_hi:[1,0,1]
	v_pk_add_f32 v[16:17], v[14:15], v[10:11]
	v_pk_add_f32 v[4:5], v[0:1], v[20:21]
	ds_write2_b64 v48, v[16:17], v[4:5] offset0:70 offset1:105
	s_mov_b32 s8, 0xbf4f1bbd
	s_mov_b32 s9, s1
	v_pk_mul_f32 v[4:5], v[18:19], s[16:17] op_sel_hi:[0,1]
	v_mov_b32_e32 v23, v35
	v_pk_fma_f32 v[2:3], v[2:3], s[8:9], v[4:5] op_sel_hi:[0,1,1] neg_lo:[0,0,1] neg_hi:[0,0,1]
	v_pk_fma_f32 v[4:5], v[40:41], s[0:1], v[22:23] op_sel_hi:[1,0,1]
	v_pk_add_f32 v[8:9], v[12:13], v[8:9] neg_lo:[0,1] neg_hi:[0,1]
	v_pk_add_f32 v[6:7], v[4:5], v[2:3]
	ds_write2_b64 v48, v[6:7], v[8:9] offset0:140 offset1:175
	v_pk_add_f32 v[6:7], v[38:39], v[42:43] neg_lo:[0,1] neg_hi:[0,1]
	v_pk_add_f32 v[8:9], v[14:15], v[10:11] neg_lo:[0,1] neg_hi:[0,1]
	;; [unrolled: 1-line block ×4, first 2 shown]
	v_add_u32_e32 v4, 0x800, v48
	ds_write2_b64 v48, v[6:7], v[8:9] offset0:210 offset1:245
	ds_write2_b64 v4, v[0:1], v[2:3] offset0:24 offset1:59
.LBB0_21:
	s_or_b64 exec, exec, s[2:3]
	s_waitcnt lgkmcnt(0)
	; wave barrier
	s_waitcnt lgkmcnt(0)
	ds_read2_b64 v[0:3], v48 offset1:70
	v_mad_u64_u32 v[6:7], s[0:1], s6, v56, 0
	v_mov_b32_e32 v8, v7
	v_mad_u64_u32 v[8:9], s[0:1], s7, v56, v[8:9]
	v_mov_b32_e32 v7, v8
	s_waitcnt lgkmcnt(0)
	v_mul_f32_e32 v8, v65, v1
	v_fmac_f32_e32 v8, v64, v0
	v_mul_f32_e32 v0, v65, v0
	s_mov_b32 s0, 0xe434a9b1
	v_fma_f32 v0, v64, v1, -v0
	v_cvt_f64_f32_e32 v[8:9], v8
	s_mov_b32 s1, 0x3f6767dc
	v_cvt_f64_f32_e32 v[0:1], v0
	v_mul_f64 v[8:9], v[8:9], s[0:1]
	v_mul_f64 v[0:1], v[0:1], s[0:1]
	v_cvt_f32_f64_e32 v8, v[8:9]
	v_cvt_f32_f64_e32 v9, v[0:1]
	v_mad_u64_u32 v[0:1], s[2:3], s4, v52, 0
	v_mov_b32_e32 v10, v1
	v_mov_b32_e32 v4, s10
	;; [unrolled: 1-line block ×3, first 2 shown]
	v_mad_u64_u32 v[10:11], s[2:3], s5, v52, v[10:11]
	v_mov_b32_e32 v1, v10
	v_lshl_add_u64 v[4:5], v[6:7], 3, v[4:5]
	v_lshl_add_u64 v[4:5], v[0:1], 3, v[4:5]
	v_mul_f32_e32 v0, v63, v3
	v_fmac_f32_e32 v0, v62, v2
	v_cvt_f64_f32_e32 v[0:1], v0
	v_mul_f64 v[0:1], v[0:1], s[0:1]
	v_cvt_f32_f64_e32 v6, v[0:1]
	v_mul_f32_e32 v0, v63, v2
	v_fma_f32 v0, v62, v3, -v0
	v_cvt_f64_f32_e32 v[0:1], v0
	v_mul_f64 v[0:1], v[0:1], s[0:1]
	v_cvt_f32_f64_e32 v7, v[0:1]
	ds_read2_b64 v[0:3], v48 offset0:140 offset1:210
	s_mul_i32 s2, s5, 0x46
	s_mul_hi_u32 s3, s4, 0x46
	s_add_i32 s3, s3, s2
	s_mul_i32 s2, s4, 0x46
	s_lshl_b64 s[2:3], s[2:3], 3
	global_store_dwordx2 v[4:5], v[8:9], off
	v_lshl_add_u64 v[4:5], v[4:5], 0, s[2:3]
	global_store_dwordx2 v[4:5], v[6:7], off
	s_waitcnt lgkmcnt(0)
	v_mul_f32_e32 v6, v61, v1
	v_fmac_f32_e32 v6, v60, v0
	v_mul_f32_e32 v0, v61, v0
	v_fma_f32 v0, v60, v1, -v0
	v_cvt_f64_f32_e32 v[6:7], v6
	v_cvt_f64_f32_e32 v[0:1], v0
	v_mul_f64 v[6:7], v[6:7], s[0:1]
	v_mul_f64 v[0:1], v[0:1], s[0:1]
	v_cvt_f32_f64_e32 v6, v[6:7]
	v_cvt_f32_f64_e32 v7, v[0:1]
	v_lshl_add_u64 v[0:1], v[4:5], 0, s[2:3]
	global_store_dwordx2 v[0:1], v[6:7], off
	v_mul_f32_e32 v4, v59, v3
	ds_read_b64 v[6:7], v48 offset:2240
	v_fmac_f32_e32 v4, v58, v2
	v_mul_f32_e32 v2, v59, v2
	v_fma_f32 v2, v58, v3, -v2
	v_cvt_f64_f32_e32 v[4:5], v4
	v_cvt_f64_f32_e32 v[2:3], v2
	v_mul_f64 v[4:5], v[4:5], s[0:1]
	v_mul_f64 v[2:3], v[2:3], s[0:1]
	v_cvt_f32_f64_e32 v4, v[4:5]
	v_cvt_f32_f64_e32 v5, v[2:3]
	s_waitcnt lgkmcnt(0)
	v_mul_f32_e32 v2, v55, v7
	v_fmac_f32_e32 v2, v54, v6
	v_cvt_f64_f32_e32 v[2:3], v2
	v_mul_f64 v[2:3], v[2:3], s[0:1]
	v_cvt_f32_f64_e32 v2, v[2:3]
	v_mul_f32_e32 v3, v55, v6
	v_lshl_add_u64 v[0:1], v[0:1], 0, s[2:3]
	v_fma_f32 v3, v54, v7, -v3
	global_store_dwordx2 v[0:1], v[4:5], off
	v_cvt_f64_f32_e32 v[4:5], v3
	v_mul_f64 v[4:5], v[4:5], s[0:1]
	v_cvt_f32_f64_e32 v3, v[4:5]
	v_lshl_add_u64 v[0:1], v[0:1], 0, s[2:3]
	global_store_dwordx2 v[0:1], v[2:3], off
	s_and_b64 exec, exec, vcc
	s_cbranch_execz .LBB0_23
; %bb.22:
	global_load_dwordx2 v[10:11], v[50:51], off offset:400
	global_load_dwordx2 v[12:13], v[50:51], off offset:960
	global_load_dwordx2 v[14:15], v[50:51], off offset:1520
	global_load_dwordx2 v[16:17], v[50:51], off offset:2080
	global_load_dwordx2 v[18:19], v[50:51], off offset:2640
	ds_read2_b64 v[2:5], v48 offset0:50 offset1:120
	v_mov_b32_e32 v6, 0xfffff8d0
	v_add_u32_e32 v7, 0x400, v48
	ds_read_b64 v[20:21], v48 offset:2640
	v_mad_u64_u32 v[0:1], s[6:7], s4, v6, v[0:1]
	ds_read2_b64 v[6:9], v7 offset0:62 offset1:132
	s_mulk_i32 s5, 0xf8d0
	s_sub_i32 s4, s5, s4
	v_add_u32_e32 v1, s4, v1
	v_lshl_add_u64 v[22:23], v[0:1], 0, s[2:3]
	v_lshl_add_u64 v[24:25], v[22:23], 0, s[2:3]
	v_lshl_add_u64 v[26:27], v[24:25], 0, s[2:3]
	v_lshl_add_u64 v[28:29], v[26:27], 0, s[2:3]
	s_waitcnt vmcnt(4) lgkmcnt(2)
	v_mul_f32_e32 v30, v3, v11
	v_mul_f32_e32 v11, v2, v11
	s_waitcnt vmcnt(3)
	v_mul_f32_e32 v31, v5, v13
	v_mul_f32_e32 v13, v4, v13
	s_waitcnt vmcnt(2) lgkmcnt(0)
	v_mul_f32_e32 v32, v7, v15
	v_mul_f32_e32 v15, v6, v15
	s_waitcnt vmcnt(1)
	v_mul_f32_e32 v33, v9, v17
	v_mul_f32_e32 v17, v8, v17
	s_waitcnt vmcnt(0)
	v_mul_f32_e32 v34, v21, v19
	v_mul_f32_e32 v19, v20, v19
	v_fmac_f32_e32 v30, v2, v10
	v_fma_f32 v10, v10, v3, -v11
	v_fmac_f32_e32 v31, v4, v12
	v_fma_f32 v11, v12, v5, -v13
	;; [unrolled: 2-line block ×5, first 2 shown]
	v_cvt_f64_f32_e32 v[2:3], v30
	v_cvt_f64_f32_e32 v[4:5], v10
	;; [unrolled: 1-line block ×10, first 2 shown]
	v_mul_f64 v[2:3], v[2:3], s[0:1]
	v_mul_f64 v[4:5], v[4:5], s[0:1]
	;; [unrolled: 1-line block ×10, first 2 shown]
	v_cvt_f32_f64_e32 v2, v[2:3]
	v_cvt_f32_f64_e32 v3, v[4:5]
	;; [unrolled: 1-line block ×10, first 2 shown]
	global_store_dwordx2 v[0:1], v[2:3], off
	global_store_dwordx2 v[22:23], v[4:5], off
	;; [unrolled: 1-line block ×5, first 2 shown]
.LBB0_23:
	s_endpgm
	.section	.rodata,"a",@progbits
	.p2align	6, 0x0
	.amdhsa_kernel bluestein_single_back_len350_dim1_sp_op_CI_CI
		.amdhsa_group_segment_fixed_size 2800
		.amdhsa_private_segment_fixed_size 0
		.amdhsa_kernarg_size 104
		.amdhsa_user_sgpr_count 2
		.amdhsa_user_sgpr_dispatch_ptr 0
		.amdhsa_user_sgpr_queue_ptr 0
		.amdhsa_user_sgpr_kernarg_segment_ptr 1
		.amdhsa_user_sgpr_dispatch_id 0
		.amdhsa_user_sgpr_kernarg_preload_length 0
		.amdhsa_user_sgpr_kernarg_preload_offset 0
		.amdhsa_user_sgpr_private_segment_size 0
		.amdhsa_uses_dynamic_stack 0
		.amdhsa_enable_private_segment 0
		.amdhsa_system_sgpr_workgroup_id_x 1
		.amdhsa_system_sgpr_workgroup_id_y 0
		.amdhsa_system_sgpr_workgroup_id_z 0
		.amdhsa_system_sgpr_workgroup_info 0
		.amdhsa_system_vgpr_workitem_id 0
		.amdhsa_next_free_vgpr 102
		.amdhsa_next_free_sgpr 21
		.amdhsa_accum_offset 104
		.amdhsa_reserve_vcc 1
		.amdhsa_float_round_mode_32 0
		.amdhsa_float_round_mode_16_64 0
		.amdhsa_float_denorm_mode_32 3
		.amdhsa_float_denorm_mode_16_64 3
		.amdhsa_dx10_clamp 1
		.amdhsa_ieee_mode 1
		.amdhsa_fp16_overflow 0
		.amdhsa_tg_split 0
		.amdhsa_exception_fp_ieee_invalid_op 0
		.amdhsa_exception_fp_denorm_src 0
		.amdhsa_exception_fp_ieee_div_zero 0
		.amdhsa_exception_fp_ieee_overflow 0
		.amdhsa_exception_fp_ieee_underflow 0
		.amdhsa_exception_fp_ieee_inexact 0
		.amdhsa_exception_int_div_zero 0
	.end_amdhsa_kernel
	.text
.Lfunc_end0:
	.size	bluestein_single_back_len350_dim1_sp_op_CI_CI, .Lfunc_end0-bluestein_single_back_len350_dim1_sp_op_CI_CI
                                        ; -- End function
	.section	.AMDGPU.csdata,"",@progbits
; Kernel info:
; codeLenInByte = 8852
; NumSgprs: 27
; NumVgprs: 102
; NumAgprs: 0
; TotalNumVgprs: 102
; ScratchSize: 0
; MemoryBound: 0
; FloatMode: 240
; IeeeMode: 1
; LDSByteSize: 2800 bytes/workgroup (compile time only)
; SGPRBlocks: 3
; VGPRBlocks: 12
; NumSGPRsForWavesPerEU: 27
; NumVGPRsForWavesPerEU: 102
; AccumOffset: 104
; Occupancy: 4
; WaveLimiterHint : 1
; COMPUTE_PGM_RSRC2:SCRATCH_EN: 0
; COMPUTE_PGM_RSRC2:USER_SGPR: 2
; COMPUTE_PGM_RSRC2:TRAP_HANDLER: 0
; COMPUTE_PGM_RSRC2:TGID_X_EN: 1
; COMPUTE_PGM_RSRC2:TGID_Y_EN: 0
; COMPUTE_PGM_RSRC2:TGID_Z_EN: 0
; COMPUTE_PGM_RSRC2:TIDIG_COMP_CNT: 0
; COMPUTE_PGM_RSRC3_GFX90A:ACCUM_OFFSET: 25
; COMPUTE_PGM_RSRC3_GFX90A:TG_SPLIT: 0
	.text
	.p2alignl 6, 3212836864
	.fill 256, 4, 3212836864
	.type	__hip_cuid_fb701bcdbe5c3c2,@object ; @__hip_cuid_fb701bcdbe5c3c2
	.section	.bss,"aw",@nobits
	.globl	__hip_cuid_fb701bcdbe5c3c2
__hip_cuid_fb701bcdbe5c3c2:
	.byte	0                               ; 0x0
	.size	__hip_cuid_fb701bcdbe5c3c2, 1

	.ident	"AMD clang version 19.0.0git (https://github.com/RadeonOpenCompute/llvm-project roc-6.4.0 25133 c7fe45cf4b819c5991fe208aaa96edf142730f1d)"
	.section	".note.GNU-stack","",@progbits
	.addrsig
	.addrsig_sym __hip_cuid_fb701bcdbe5c3c2
	.amdgpu_metadata
---
amdhsa.kernels:
  - .agpr_count:     0
    .args:
      - .actual_access:  read_only
        .address_space:  global
        .offset:         0
        .size:           8
        .value_kind:     global_buffer
      - .actual_access:  read_only
        .address_space:  global
        .offset:         8
        .size:           8
        .value_kind:     global_buffer
      - .actual_access:  read_only
        .address_space:  global
        .offset:         16
        .size:           8
        .value_kind:     global_buffer
      - .actual_access:  read_only
        .address_space:  global
        .offset:         24
        .size:           8
        .value_kind:     global_buffer
      - .actual_access:  read_only
        .address_space:  global
        .offset:         32
        .size:           8
        .value_kind:     global_buffer
      - .offset:         40
        .size:           8
        .value_kind:     by_value
      - .address_space:  global
        .offset:         48
        .size:           8
        .value_kind:     global_buffer
      - .address_space:  global
        .offset:         56
        .size:           8
        .value_kind:     global_buffer
      - .address_space:  global
        .offset:         64
        .size:           8
        .value_kind:     global_buffer
      - .address_space:  global
        .offset:         72
        .size:           8
        .value_kind:     global_buffer
      - .offset:         80
        .size:           4
        .value_kind:     by_value
      - .address_space:  global
        .offset:         88
        .size:           8
        .value_kind:     global_buffer
      - .address_space:  global
        .offset:         96
        .size:           8
        .value_kind:     global_buffer
    .group_segment_fixed_size: 2800
    .kernarg_segment_align: 8
    .kernarg_segment_size: 104
    .language:       OpenCL C
    .language_version:
      - 2
      - 0
    .max_flat_workgroup_size: 50
    .name:           bluestein_single_back_len350_dim1_sp_op_CI_CI
    .private_segment_fixed_size: 0
    .sgpr_count:     27
    .sgpr_spill_count: 0
    .symbol:         bluestein_single_back_len350_dim1_sp_op_CI_CI.kd
    .uniform_work_group_size: 1
    .uses_dynamic_stack: false
    .vgpr_count:     102
    .vgpr_spill_count: 0
    .wavefront_size: 64
amdhsa.target:   amdgcn-amd-amdhsa--gfx950
amdhsa.version:
  - 1
  - 2
...

	.end_amdgpu_metadata
